;; amdgpu-corpus repo=ROCm/rocFFT kind=compiled arch=gfx950 opt=O3
	.text
	.amdgcn_target "amdgcn-amd-amdhsa--gfx950"
	.amdhsa_code_object_version 6
	.protected	fft_rtc_back_len1440_factors_10_16_3_3_wgs_90_tpt_90_halfLds_sp_op_CI_CI_unitstride_sbrr_C2R_dirReg ; -- Begin function fft_rtc_back_len1440_factors_10_16_3_3_wgs_90_tpt_90_halfLds_sp_op_CI_CI_unitstride_sbrr_C2R_dirReg
	.globl	fft_rtc_back_len1440_factors_10_16_3_3_wgs_90_tpt_90_halfLds_sp_op_CI_CI_unitstride_sbrr_C2R_dirReg
	.p2align	8
	.type	fft_rtc_back_len1440_factors_10_16_3_3_wgs_90_tpt_90_halfLds_sp_op_CI_CI_unitstride_sbrr_C2R_dirReg,@function
fft_rtc_back_len1440_factors_10_16_3_3_wgs_90_tpt_90_halfLds_sp_op_CI_CI_unitstride_sbrr_C2R_dirReg: ; @fft_rtc_back_len1440_factors_10_16_3_3_wgs_90_tpt_90_halfLds_sp_op_CI_CI_unitstride_sbrr_C2R_dirReg
; %bb.0:
	s_load_dwordx4 s[4:7], s[0:1], 0x58
	s_load_dwordx4 s[8:11], s[0:1], 0x0
	;; [unrolled: 1-line block ×3, first 2 shown]
	v_mul_u32_u24_e32 v1, 0x2d9, v0
	v_add_u32_sdwa v6, s2, v1 dst_sel:DWORD dst_unused:UNUSED_PAD src0_sel:DWORD src1_sel:WORD_1
	v_mov_b32_e32 v4, 0
	s_waitcnt lgkmcnt(0)
	v_cmp_lt_u64_e64 s[2:3], s[10:11], 2
	v_mov_b32_e32 v7, v4
	s_and_b64 vcc, exec, s[2:3]
	v_mov_b64_e32 v[2:3], 0
	s_cbranch_vccnz .LBB0_8
; %bb.1:
	s_load_dwordx2 s[2:3], s[0:1], 0x10
	s_add_u32 s16, s14, 8
	s_addc_u32 s17, s15, 0
	s_add_u32 s18, s12, 8
	s_addc_u32 s19, s13, 0
	s_waitcnt lgkmcnt(0)
	s_add_u32 s20, s2, 8
	v_mov_b64_e32 v[2:3], 0
	s_addc_u32 s21, s3, 0
	s_mov_b64 s[22:23], 1
	v_mov_b64_e32 v[40:41], v[2:3]
.LBB0_2:                                ; =>This Inner Loop Header: Depth=1
	s_load_dwordx2 s[24:25], s[20:21], 0x0
                                        ; implicit-def: $vgpr42_vgpr43
	s_waitcnt lgkmcnt(0)
	v_or_b32_e32 v5, s25, v7
	v_cmp_ne_u64_e32 vcc, 0, v[4:5]
	s_and_saveexec_b64 s[2:3], vcc
	s_xor_b64 s[26:27], exec, s[2:3]
	s_cbranch_execz .LBB0_4
; %bb.3:                                ;   in Loop: Header=BB0_2 Depth=1
	v_cvt_f32_u32_e32 v1, s24
	v_cvt_f32_u32_e32 v5, s25
	s_sub_u32 s2, 0, s24
	s_subb_u32 s3, 0, s25
	v_fmac_f32_e32 v1, 0x4f800000, v5
	v_rcp_f32_e32 v1, v1
	s_nop 0
	v_mul_f32_e32 v1, 0x5f7ffffc, v1
	v_mul_f32_e32 v5, 0x2f800000, v1
	v_trunc_f32_e32 v5, v5
	v_fmac_f32_e32 v1, 0xcf800000, v5
	v_cvt_u32_f32_e32 v5, v5
	v_cvt_u32_f32_e32 v1, v1
	v_mul_lo_u32 v8, s2, v5
	v_mul_hi_u32 v10, s2, v1
	v_mul_lo_u32 v9, s3, v1
	v_add_u32_e32 v10, v10, v8
	v_mul_lo_u32 v12, s2, v1
	v_add_u32_e32 v13, v10, v9
	v_mul_hi_u32 v8, v1, v12
	v_mul_hi_u32 v11, v1, v13
	v_mul_lo_u32 v10, v1, v13
	v_mov_b32_e32 v9, v4
	v_lshl_add_u64 v[8:9], v[8:9], 0, v[10:11]
	v_mul_hi_u32 v11, v5, v12
	v_mul_lo_u32 v12, v5, v12
	v_add_co_u32_e32 v8, vcc, v8, v12
	v_mul_hi_u32 v10, v5, v13
	s_nop 0
	v_addc_co_u32_e32 v8, vcc, v9, v11, vcc
	v_mov_b32_e32 v9, v4
	s_nop 0
	v_addc_co_u32_e32 v11, vcc, 0, v10, vcc
	v_mul_lo_u32 v10, v5, v13
	v_lshl_add_u64 v[8:9], v[8:9], 0, v[10:11]
	v_add_co_u32_e32 v1, vcc, v1, v8
	v_mul_lo_u32 v10, s2, v1
	s_nop 0
	v_addc_co_u32_e32 v5, vcc, v5, v9, vcc
	v_mul_lo_u32 v8, s2, v5
	v_mul_hi_u32 v9, s2, v1
	v_add_u32_e32 v8, v9, v8
	v_mul_lo_u32 v9, s3, v1
	v_add_u32_e32 v12, v8, v9
	v_mul_hi_u32 v14, v5, v10
	v_mul_lo_u32 v15, v5, v10
	v_mul_hi_u32 v9, v1, v12
	v_mul_lo_u32 v8, v1, v12
	v_mul_hi_u32 v10, v1, v10
	v_mov_b32_e32 v11, v4
	v_lshl_add_u64 v[8:9], v[10:11], 0, v[8:9]
	v_add_co_u32_e32 v8, vcc, v8, v15
	v_mul_hi_u32 v13, v5, v12
	s_nop 0
	v_addc_co_u32_e32 v8, vcc, v9, v14, vcc
	v_mul_lo_u32 v10, v5, v12
	s_nop 0
	v_addc_co_u32_e32 v11, vcc, 0, v13, vcc
	v_mov_b32_e32 v9, v4
	v_lshl_add_u64 v[8:9], v[8:9], 0, v[10:11]
	v_add_co_u32_e32 v1, vcc, v1, v8
	v_mul_hi_u32 v10, v6, v1
	s_nop 0
	v_addc_co_u32_e32 v5, vcc, v5, v9, vcc
	v_mad_u64_u32 v[8:9], s[2:3], v6, v5, 0
	v_mov_b32_e32 v11, v4
	v_lshl_add_u64 v[8:9], v[10:11], 0, v[8:9]
	v_mad_u64_u32 v[12:13], s[2:3], v7, v1, 0
	v_add_co_u32_e32 v1, vcc, v8, v12
	v_mad_u64_u32 v[10:11], s[2:3], v7, v5, 0
	s_nop 0
	v_addc_co_u32_e32 v8, vcc, v9, v13, vcc
	v_mov_b32_e32 v9, v4
	s_nop 0
	v_addc_co_u32_e32 v11, vcc, 0, v11, vcc
	v_lshl_add_u64 v[8:9], v[8:9], 0, v[10:11]
	v_mul_lo_u32 v1, s25, v8
	v_mul_lo_u32 v5, s24, v9
	v_mad_u64_u32 v[10:11], s[2:3], s24, v8, 0
	v_add3_u32 v1, v11, v5, v1
	v_sub_u32_e32 v5, v7, v1
	v_mov_b32_e32 v11, s25
	v_sub_co_u32_e32 v14, vcc, v6, v10
	v_lshl_add_u64 v[12:13], v[8:9], 0, 1
	s_nop 0
	v_subb_co_u32_e64 v5, s[2:3], v5, v11, vcc
	v_subrev_co_u32_e64 v10, s[2:3], s24, v14
	v_subb_co_u32_e32 v1, vcc, v7, v1, vcc
	s_nop 0
	v_subbrev_co_u32_e64 v5, s[2:3], 0, v5, s[2:3]
	v_cmp_le_u32_e64 s[2:3], s25, v5
	v_cmp_le_u32_e32 vcc, s25, v1
	s_nop 0
	v_cndmask_b32_e64 v11, 0, -1, s[2:3]
	v_cmp_le_u32_e64 s[2:3], s24, v10
	s_nop 1
	v_cndmask_b32_e64 v10, 0, -1, s[2:3]
	v_cmp_eq_u32_e64 s[2:3], s25, v5
	s_nop 1
	v_cndmask_b32_e64 v5, v11, v10, s[2:3]
	v_lshl_add_u64 v[10:11], v[8:9], 0, 2
	v_cmp_ne_u32_e64 s[2:3], 0, v5
	s_nop 1
	v_cndmask_b32_e64 v5, v13, v11, s[2:3]
	v_cndmask_b32_e64 v11, 0, -1, vcc
	v_cmp_le_u32_e32 vcc, s24, v14
	s_nop 1
	v_cndmask_b32_e64 v13, 0, -1, vcc
	v_cmp_eq_u32_e32 vcc, s25, v1
	s_nop 1
	v_cndmask_b32_e32 v1, v11, v13, vcc
	v_cmp_ne_u32_e32 vcc, 0, v1
	v_cndmask_b32_e64 v1, v12, v10, s[2:3]
	s_nop 0
	v_cndmask_b32_e32 v43, v9, v5, vcc
	v_cndmask_b32_e32 v42, v8, v1, vcc
.LBB0_4:                                ;   in Loop: Header=BB0_2 Depth=1
	s_andn2_saveexec_b64 s[2:3], s[26:27]
	s_cbranch_execz .LBB0_6
; %bb.5:                                ;   in Loop: Header=BB0_2 Depth=1
	v_cvt_f32_u32_e32 v1, s24
	s_sub_i32 s26, 0, s24
	v_mov_b32_e32 v43, v4
	v_rcp_iflag_f32_e32 v1, v1
	s_nop 0
	v_mul_f32_e32 v1, 0x4f7ffffe, v1
	v_cvt_u32_f32_e32 v1, v1
	v_mul_lo_u32 v5, s26, v1
	v_mul_hi_u32 v5, v1, v5
	v_add_u32_e32 v1, v1, v5
	v_mul_hi_u32 v1, v6, v1
	v_mul_lo_u32 v5, v1, s24
	v_sub_u32_e32 v5, v6, v5
	v_add_u32_e32 v8, 1, v1
	v_subrev_u32_e32 v9, s24, v5
	v_cmp_le_u32_e32 vcc, s24, v5
	s_nop 1
	v_cndmask_b32_e32 v5, v5, v9, vcc
	v_cndmask_b32_e32 v1, v1, v8, vcc
	v_add_u32_e32 v8, 1, v1
	v_cmp_le_u32_e32 vcc, s24, v5
	s_nop 1
	v_cndmask_b32_e32 v42, v1, v8, vcc
.LBB0_6:                                ;   in Loop: Header=BB0_2 Depth=1
	s_or_b64 exec, exec, s[2:3]
	v_mad_u64_u32 v[8:9], s[2:3], v42, s24, 0
	s_load_dwordx2 s[2:3], s[18:19], 0x0
	v_mul_lo_u32 v1, v43, s24
	v_mul_lo_u32 v5, v42, s25
	s_load_dwordx2 s[24:25], s[16:17], 0x0
	s_add_u32 s22, s22, 1
	v_add3_u32 v1, v9, v5, v1
	v_sub_co_u32_e32 v5, vcc, v6, v8
	s_addc_u32 s23, s23, 0
	s_nop 0
	v_subb_co_u32_e32 v1, vcc, v7, v1, vcc
	s_add_u32 s16, s16, 8
	s_waitcnt lgkmcnt(0)
	v_mul_lo_u32 v6, s2, v1
	v_mul_lo_u32 v7, s3, v5
	v_mad_u64_u32 v[2:3], s[2:3], s2, v5, v[2:3]
	s_addc_u32 s17, s17, 0
	v_add3_u32 v3, v7, v3, v6
	v_mul_lo_u32 v1, s24, v1
	v_mul_lo_u32 v6, s25, v5
	v_mad_u64_u32 v[40:41], s[2:3], s24, v5, v[40:41]
	s_add_u32 s18, s18, 8
	v_add3_u32 v41, v6, v41, v1
	s_addc_u32 s19, s19, 0
	v_mov_b64_e32 v[6:7], s[10:11]
	s_add_u32 s20, s20, 8
	v_cmp_ge_u64_e32 vcc, s[22:23], v[6:7]
	s_addc_u32 s21, s21, 0
	s_cbranch_vccnz .LBB0_9
; %bb.7:                                ;   in Loop: Header=BB0_2 Depth=1
	v_mov_b64_e32 v[6:7], v[42:43]
	s_branch .LBB0_2
.LBB0_8:
	v_mov_b64_e32 v[40:41], v[2:3]
	v_mov_b64_e32 v[42:43], v[6:7]
.LBB0_9:
	s_load_dwordx2 s[2:3], s[0:1], 0x28
	s_lshl_b64 s[16:17], s[10:11], 3
	s_add_u32 s10, s14, s16
	s_addc_u32 s11, s15, s17
                                        ; implicit-def: $vgpr44
	s_waitcnt lgkmcnt(0)
	v_cmp_gt_u64_e64 s[0:1], s[2:3], v[42:43]
	v_cmp_le_u64_e32 vcc, s[2:3], v[42:43]
	s_and_saveexec_b64 s[2:3], vcc
	s_xor_b64 s[2:3], exec, s[2:3]
; %bb.10:
	s_mov_b32 s14, 0x2d82d83
	v_mul_hi_u32 v1, v0, s14
	v_mul_u32_u24_e32 v1, 0x5a, v1
	v_sub_u32_e32 v44, v0, v1
                                        ; implicit-def: $vgpr0
                                        ; implicit-def: $vgpr2_vgpr3
; %bb.11:
	s_or_saveexec_b64 s[2:3], s[2:3]
	s_load_dwordx2 s[10:11], s[10:11], 0x0
	s_xor_b64 exec, exec, s[2:3]
	s_cbranch_execz .LBB0_15
; %bb.12:
	s_add_u32 s12, s12, s16
	s_addc_u32 s13, s13, s17
	s_load_dwordx2 s[12:13], s[12:13], 0x0
	s_mov_b32 s14, 0x2d82d83
	s_waitcnt lgkmcnt(0)
	v_mul_lo_u32 v1, s13, v42
	v_mul_lo_u32 v6, s12, v43
	v_mad_u64_u32 v[4:5], s[12:13], s12, v42, 0
	v_add3_u32 v5, v5, v6, v1
	v_mul_hi_u32 v1, v0, s14
	v_mul_u32_u24_e32 v1, 0x5a, v1
	v_sub_u32_e32 v44, v0, v1
	v_lshl_add_u64 v[0:1], v[4:5], 3, s[4:5]
	v_lshl_add_u64 v[2:3], v[2:3], 3, v[0:1]
	v_lshlrev_b32_e32 v0, 3, v44
	v_mov_b32_e32 v1, 0
	v_lshl_add_u64 v[4:5], v[2:3], 0, v[0:1]
	s_movk_i32 s4, 0x1000
	v_add_co_u32_e32 v14, vcc, s4, v4
	global_load_dwordx2 v[6:7], v[4:5], off
	global_load_dwordx2 v[8:9], v[4:5], off offset:720
	global_load_dwordx2 v[10:11], v[4:5], off offset:1440
	;; [unrolled: 1-line block ×3, first 2 shown]
	v_addc_co_u32_e32 v15, vcc, 0, v5, vcc
	global_load_dwordx2 v[16:17], v[4:5], off offset:2880
	global_load_dwordx2 v[18:19], v[4:5], off offset:3600
	;; [unrolled: 1-line block ×8, first 2 shown]
	v_add_co_u32_e32 v4, vcc, 0x2000, v4
	s_movk_i32 s4, 0x59
	s_nop 0
	v_addc_co_u32_e32 v5, vcc, 0, v5, vcc
	global_load_dwordx2 v[14:15], v[4:5], off offset:448
	global_load_dwordx2 v[32:33], v[4:5], off offset:1168
	;; [unrolled: 1-line block ×4, first 2 shown]
	v_add_u32_e32 v0, 0, v0
	v_cmp_eq_u32_e32 vcc, s4, v44
	v_add_u32_e32 v4, 0x400, v0
	v_add_u32_e32 v5, 0x800, v0
	;; [unrolled: 1-line block ×7, first 2 shown]
	s_waitcnt vmcnt(14)
	ds_write2_b64 v0, v[6:7], v[8:9] offset1:90
	s_waitcnt vmcnt(12)
	ds_write2_b64 v4, v[10:11], v[12:13] offset0:52 offset1:142
	s_waitcnt vmcnt(10)
	ds_write2_b64 v5, v[16:17], v[18:19] offset0:104 offset1:194
	;; [unrolled: 2-line block ×7, first 2 shown]
	s_and_saveexec_b64 s[4:5], vcc
	s_cbranch_execz .LBB0_14
; %bb.13:
	v_add_co_u32_e32 v2, vcc, 0x2000, v2
	v_mov_b32_e32 v44, 0x59
	s_nop 0
	v_addc_co_u32_e32 v3, vcc, 0, v3, vcc
	global_load_dwordx2 v[2:3], v[2:3], off offset:3328
	s_waitcnt vmcnt(0)
	ds_write_b64 v1, v[2:3] offset:11520
.LBB0_14:
	s_or_b64 exec, exec, s[4:5]
.LBB0_15:
	s_or_b64 exec, exec, s[2:3]
	v_lshlrev_b32_e32 v0, 3, v44
	v_add_u32_e32 v68, 0, v0
	s_waitcnt lgkmcnt(0)
	s_barrier
	v_sub_u32_e32 v4, 0, v0
	ds_read_b32 v1, v68
	ds_read_b32 v2, v4 offset:11520
	s_add_u32 s2, s8, 0x2cb0
	s_addc_u32 s3, s9, 0
	v_cmp_ne_u32_e32 vcc, 0, v44
	s_waitcnt lgkmcnt(0)
	v_add_f32_e32 v0, v2, v1
	v_sub_f32_e32 v1, v1, v2
                                        ; implicit-def: $vgpr2_vgpr3
	s_and_saveexec_b64 s[4:5], vcc
	s_xor_b64 s[4:5], exec, s[4:5]
	s_cbranch_execz .LBB0_17
; %bb.16:
	v_mov_b32_e32 v45, 0
	v_lshl_add_u64 v[2:3], v[44:45], 3, s[2:3]
	global_load_dwordx2 v[6:7], v[2:3], off
	ds_read_b32 v5, v4 offset:11524
	ds_read_b32 v11, v68 offset:4
	v_mov_b32_e32 v8, v1
	v_mov_b32_e32 v10, v0
	;; [unrolled: 1-line block ×3, first 2 shown]
	v_mov_b64_e32 v[2:3], v[44:45]
	s_waitcnt lgkmcnt(0)
	v_add_f32_e32 v9, v5, v11
	v_sub_f32_e32 v11, v11, v5
	v_mov_b32_e32 v12, v9
	s_waitcnt vmcnt(0)
	v_pk_mul_f32 v[14:15], v[8:9], v[6:7] op_sel:[0,1]
	v_pk_fma_f32 v[8:9], v[8:9], v[6:7], v[10:11] op_sel:[0,1,0]
	v_mov_b32_e32 v1, v15
	v_mov_b32_e32 v15, v11
	v_pk_fma_f32 v[16:17], v[6:7], v[12:13], v[8:9] neg_lo:[1,0,0] neg_hi:[1,0,0]
	v_pk_fma_f32 v[8:9], v[6:7], v[12:13], v[8:9] op_sel_hi:[0,1,1]
	v_pk_add_f32 v[0:1], v[0:1], v[14:15] neg_lo:[0,1] neg_hi:[0,1]
	v_mov_b32_e32 v17, v9
	v_pk_fma_f32 v[0:1], v[6:7], v[12:13], v[0:1] op_sel_hi:[0,1,1]
	ds_write_b64 v4, v[0:1] offset:11520
	v_mov_b64_e32 v[0:1], v[16:17]
.LBB0_17:
	s_andn2_saveexec_b64 s[4:5], s[4:5]
	s_cbranch_execz .LBB0_19
; %bb.18:
	v_mov_b32_e32 v5, 0
	ds_read_b64 v[2:3], v5 offset:5760
	s_mov_b32 s12, 2.0
	s_mov_b32 s13, -2.0
	s_waitcnt lgkmcnt(0)
	v_pk_mul_f32 v[2:3], v[2:3], s[12:13]
	ds_write_b64 v5, v[2:3] offset:5760
	v_mov_b64_e32 v[2:3], 0
.LBB0_19:
	s_or_b64 exec, exec, s[4:5]
	v_lshl_add_u64 v[2:3], v[2:3], 3, s[2:3]
	global_load_dwordx2 v[6:7], v[2:3], off offset:720
	global_load_dwordx2 v[8:9], v[2:3], off offset:1440
	;; [unrolled: 1-line block ×4, first 2 shown]
	ds_write_b64 v68, v[0:1]
	ds_read_b64 v[0:1], v68 offset:720
	ds_read_b64 v[14:15], v4 offset:10800
	global_load_dwordx2 v[16:17], v[2:3], off offset:3600
	s_movk_i32 s2, 0x1000
	v_add_co_u32_e32 v2, vcc, s2, v2
	s_waitcnt lgkmcnt(0)
	v_pk_add_f32 v[18:19], v[0:1], v[14:15]
	v_pk_add_f32 v[0:1], v[0:1], v[14:15] neg_lo:[0,1] neg_hi:[0,1]
	v_mov_b32_e32 v14, v19
	v_mov_b32_e32 v15, v0
	;; [unrolled: 1-line block ×3, first 2 shown]
	v_addc_co_u32_e32 v3, vcc, 0, v3, vcc
	v_add_u32_e32 v69, 0x800, v68
	v_add_u32_e32 v45, 0x1000, v68
	;; [unrolled: 1-line block ×6, first 2 shown]
	s_mov_b32 s4, 0x3f737871
	s_mov_b32 s2, 0x3e9e377a
	;; [unrolled: 1-line block ×3, first 2 shown]
	v_add_u32_e32 v71, 0x1400, v68
	s_mov_b32 s12, s3
	v_add_u32_e32 v72, 0x1c00, v68
	s_mov_b32 s14, 0x3f4f1bbd
	s_mov_b32 s22, s2
	;; [unrolled: 1-line block ×9, first 2 shown]
	v_cmp_gt_u32_e32 vcc, 54, v44
	s_waitcnt vmcnt(4)
	v_pk_mul_f32 v[20:21], v[14:15], v[6:7] op_sel:[0,1]
	s_nop 0
	v_pk_add_f32 v[22:23], v[18:19], v[20:21] op_sel:[0,1] op_sel_hi:[1,0]
	v_mov_b32_e32 v19, v20
	v_mov_b32_e32 v0, v21
	v_pk_fma_f32 v[20:21], v[6:7], v[14:15], v[22:23] neg_lo:[1,0,0] neg_hi:[1,0,0]
	v_pk_fma_f32 v[22:23], v[6:7], v[14:15], v[22:23] op_sel_hi:[0,1,1]
	v_pk_add_f32 v[0:1], v[18:19], v[0:1] neg_lo:[0,1] neg_hi:[0,1]
	v_mov_b32_e32 v21, v23
	v_pk_fma_f32 v[0:1], v[6:7], v[14:15], v[0:1] op_sel_hi:[0,1,1]
	ds_write_b64 v68, v[20:21] offset:720
	ds_write_b64 v4, v[0:1] offset:10800
	ds_read_b64 v[0:1], v4 offset:10080
	ds_read_b64 v[6:7], v68 offset:1440
	global_load_dwordx2 v[14:15], v[2:3], off offset:224
	s_waitcnt lgkmcnt(0)
	v_pk_add_f32 v[18:19], v[6:7], v[0:1]
	v_pk_add_f32 v[0:1], v[6:7], v[0:1] neg_lo:[0,1] neg_hi:[0,1]
	v_mov_b32_e32 v6, v19
	v_mov_b32_e32 v7, v0
	;; [unrolled: 1-line block ×3, first 2 shown]
	s_waitcnt vmcnt(4)
	v_pk_mul_f32 v[20:21], v[6:7], v[8:9] op_sel:[0,1]
	s_nop 0
	v_pk_add_f32 v[22:23], v[18:19], v[20:21] op_sel:[0,1] op_sel_hi:[1,0]
	v_mov_b32_e32 v19, v20
	v_mov_b32_e32 v0, v21
	v_pk_fma_f32 v[20:21], v[8:9], v[6:7], v[22:23] neg_lo:[1,0,0] neg_hi:[1,0,0]
	v_pk_fma_f32 v[22:23], v[8:9], v[6:7], v[22:23] op_sel_hi:[0,1,1]
	v_pk_add_f32 v[0:1], v[18:19], v[0:1] neg_lo:[0,1] neg_hi:[0,1]
	v_mov_b32_e32 v21, v23
	v_pk_fma_f32 v[0:1], v[8:9], v[6:7], v[0:1] op_sel_hi:[0,1,1]
	ds_write_b64 v68, v[20:21] offset:1440
	ds_write_b64 v4, v[0:1] offset:10080
	ds_read_b64 v[0:1], v4 offset:9360
	ds_read_b64 v[6:7], v68 offset:2160
	global_load_dwordx2 v[2:3], v[2:3], off offset:944
	s_waitcnt lgkmcnt(0)
	v_pk_add_f32 v[8:9], v[6:7], v[0:1]
	v_pk_add_f32 v[0:1], v[6:7], v[0:1] neg_lo:[0,1] neg_hi:[0,1]
	v_mov_b32_e32 v6, v9
	v_mov_b32_e32 v7, v0
	v_mov_b32_e32 v9, v1
	s_waitcnt vmcnt(4)
	v_pk_mul_f32 v[18:19], v[6:7], v[10:11] op_sel:[0,1]
	s_nop 0
	v_pk_add_f32 v[20:21], v[8:9], v[18:19] op_sel:[0,1] op_sel_hi:[1,0]
	v_mov_b32_e32 v9, v18
	v_mov_b32_e32 v0, v19
	v_pk_fma_f32 v[18:19], v[10:11], v[6:7], v[20:21] neg_lo:[1,0,0] neg_hi:[1,0,0]
	v_pk_fma_f32 v[20:21], v[10:11], v[6:7], v[20:21] op_sel_hi:[0,1,1]
	v_pk_add_f32 v[0:1], v[8:9], v[0:1] neg_lo:[0,1] neg_hi:[0,1]
	v_mov_b32_e32 v19, v21
	v_pk_fma_f32 v[0:1], v[10:11], v[6:7], v[0:1] op_sel_hi:[0,1,1]
	ds_write_b64 v68, v[18:19] offset:2160
	ds_write_b64 v4, v[0:1] offset:9360
	ds_read_b64 v[0:1], v4 offset:8640
	ds_read_b64 v[6:7], v68 offset:2880
	s_waitcnt lgkmcnt(0)
	v_pk_add_f32 v[8:9], v[6:7], v[0:1]
	v_pk_add_f32 v[0:1], v[6:7], v[0:1] neg_lo:[0,1] neg_hi:[0,1]
	v_mov_b32_e32 v6, v9
	v_mov_b32_e32 v7, v0
	v_mov_b32_e32 v9, v1
	s_waitcnt vmcnt(3)
	v_pk_mul_f32 v[10:11], v[6:7], v[12:13] op_sel:[0,1]
	s_nop 0
	v_pk_add_f32 v[18:19], v[8:9], v[10:11] op_sel:[0,1] op_sel_hi:[1,0]
	v_mov_b32_e32 v9, v10
	v_mov_b32_e32 v0, v11
	v_pk_fma_f32 v[10:11], v[12:13], v[6:7], v[18:19] neg_lo:[1,0,0] neg_hi:[1,0,0]
	v_pk_fma_f32 v[18:19], v[12:13], v[6:7], v[18:19] op_sel_hi:[0,1,1]
	v_pk_add_f32 v[0:1], v[8:9], v[0:1] neg_lo:[0,1] neg_hi:[0,1]
	v_mov_b32_e32 v11, v19
	v_pk_fma_f32 v[0:1], v[12:13], v[6:7], v[0:1] op_sel_hi:[0,1,1]
	ds_write_b64 v68, v[10:11] offset:2880
	ds_write_b64 v4, v[0:1] offset:8640
	ds_read_b64 v[0:1], v4 offset:7920
	ds_read_b64 v[6:7], v68 offset:3600
	;; [unrolled: 21-line block ×4, first 2 shown]
	s_waitcnt lgkmcnt(0)
	v_pk_add_f32 v[8:9], v[6:7], v[0:1]
	v_pk_add_f32 v[0:1], v[6:7], v[0:1] neg_lo:[0,1] neg_hi:[0,1]
	v_mov_b32_e32 v6, v9
	v_mov_b32_e32 v7, v0
	;; [unrolled: 1-line block ×3, first 2 shown]
	s_waitcnt vmcnt(0)
	v_pk_mul_f32 v[10:11], v[6:7], v[2:3] op_sel:[0,1]
	s_nop 0
	v_pk_add_f32 v[12:13], v[8:9], v[10:11] op_sel:[0,1] op_sel_hi:[1,0]
	v_mov_b32_e32 v9, v10
	v_mov_b32_e32 v0, v11
	v_pk_fma_f32 v[10:11], v[2:3], v[6:7], v[12:13] neg_lo:[1,0,0] neg_hi:[1,0,0]
	v_pk_fma_f32 v[12:13], v[2:3], v[6:7], v[12:13] op_sel_hi:[0,1,1]
	v_pk_add_f32 v[0:1], v[8:9], v[0:1] neg_lo:[0,1] neg_hi:[0,1]
	v_mov_b32_e32 v11, v13
	v_pk_fma_f32 v[0:1], v[2:3], v[6:7], v[0:1] op_sel_hi:[0,1,1]
	ds_write_b64 v68, v[10:11] offset:5040
	ds_write_b64 v4, v[0:1] offset:6480
	s_waitcnt lgkmcnt(0)
	s_barrier
	s_barrier
	ds_read2_b64 v[4:7], v69 offset0:32 offset1:122
	ds_read2_b64 v[12:15], v45 offset0:64 offset1:154
	;; [unrolled: 1-line block ×6, first 2 shown]
	ds_read2_b64 v[24:27], v68 offset1:90
	s_waitcnt lgkmcnt(4)
	v_pk_add_f32 v[48:49], v[14:15], v[18:19] neg_lo:[0,1] neg_hi:[0,1]
	s_waitcnt lgkmcnt(3)
	v_pk_add_f32 v[46:47], v[6:7], v[22:23] neg_lo:[0,1] neg_hi:[0,1]
	v_pk_mul_f32 v[56:57], v[48:49], s[4:5] op_sel_hi:[1,0]
	s_waitcnt lgkmcnt(1)
	v_pk_add_f32 v[50:51], v[10:11], v[2:3] neg_lo:[0,1] neg_hi:[0,1]
	v_pk_mul_f32 v[54:55], v[46:47], s[4:5] op_sel_hi:[1,0]
	v_pk_mul_f32 v[52:53], v[50:51], s[4:5] op_sel_hi:[1,0]
	s_mov_b32 s5, s2
	v_pk_add_f32 v[28:29], v[12:13], v[16:17]
	v_pk_add_f32 v[58:59], v[4:5], v[20:21] neg_lo:[0,1] neg_hi:[0,1]
	s_waitcnt lgkmcnt(0)
	v_pk_fma_f32 v[28:29], v[28:29], 0.5, v[24:25] op_sel_hi:[1,0,1] neg_lo:[1,0,0] neg_hi:[1,0,0]
	v_pk_mul_f32 v[30:31], v[58:59], s[4:5] op_sel_hi:[1,0]
	v_pk_add_f32 v[32:33], v[4:5], v[12:13] neg_lo:[0,1] neg_hi:[0,1]
	v_pk_add_f32 v[34:35], v[20:21], v[16:17] neg_lo:[0,1] neg_hi:[0,1]
	;; [unrolled: 1-line block ×3, first 2 shown]
	v_pk_add_f32 v[62:63], v[32:33], v[34:35]
	v_pk_add_f32 v[36:37], v[28:29], v[30:31] op_sel:[0,1] op_sel_hi:[1,0] neg_lo:[0,1] neg_hi:[0,1]
	v_pk_add_f32 v[38:39], v[28:29], v[30:31] op_sel:[0,1] op_sel_hi:[1,0]
	ds_read2_b64 v[28:31], v71 offset0:80 offset1:170
	ds_read2_b64 v[32:35], v72 offset0:112 offset1:202
	v_pk_mul_f32 v[64:65], v[60:61], s[12:13] op_sel_hi:[1,0]
	v_pk_add_f32 v[78:79], v[8:9], v[0:1] neg_lo:[0,1] neg_hi:[0,1]
	v_pk_add_f32 v[66:67], v[38:39], v[64:65] op_sel:[0,1] op_sel_hi:[1,0]
	v_pk_add_f32 v[64:65], v[36:37], v[64:65] op_sel:[0,1] op_sel_hi:[1,0] neg_lo:[0,1] neg_hi:[0,1]
	ds_read2_b64 v[36:39], v68 offset0:144 offset1:234
	s_waitcnt lgkmcnt(2)
	v_pk_add_f32 v[74:75], v[8:9], v[28:29] neg_lo:[0,1] neg_hi:[0,1]
	s_waitcnt lgkmcnt(1)
	v_pk_add_f32 v[76:77], v[0:1], v[32:33] neg_lo:[0,1] neg_hi:[0,1]
	v_pk_mul_f32 v[80:81], v[78:79], s[4:5] op_sel_hi:[1,0]
	v_pk_add_f32 v[74:75], v[74:75], v[76:77]
	v_pk_add_f32 v[76:77], v[28:29], v[32:33]
	v_mov_b32_e32 v90, v64
	s_waitcnt lgkmcnt(0)
	v_pk_fma_f32 v[76:77], v[76:77], 0.5, v[36:37] op_sel_hi:[1,0,1] neg_lo:[1,0,0] neg_hi:[1,0,0]
	v_mov_b32_e32 v91, v67
	v_pk_add_f32 v[82:83], v[76:77], v[80:81] op_sel:[0,1] op_sel_hi:[1,0]
	v_pk_add_f32 v[76:77], v[76:77], v[80:81] op_sel:[0,1] op_sel_hi:[1,0] neg_lo:[0,1] neg_hi:[0,1]
	v_pk_add_f32 v[80:81], v[28:29], v[32:33] neg_lo:[0,1] neg_hi:[0,1]
	v_pk_fma_f32 v[90:91], v[62:63], s[2:3], v[90:91] op_sel_hi:[1,0,1]
	v_pk_mul_f32 v[84:85], v[80:81], s[12:13] op_sel_hi:[1,0]
	s_nop 0
	v_pk_add_f32 v[82:83], v[84:85], v[82:83] op_sel:[1,0] op_sel_hi:[0,1]
	v_pk_add_f32 v[76:77], v[76:77], v[84:85] op_sel:[0,1] op_sel_hi:[1,0] neg_lo:[0,1] neg_hi:[0,1]
	v_pk_fma_f32 v[84:85], v[74:75], s[2:3], v[82:83] op_sel_hi:[1,0,1]
	v_mov_b32_e32 v82, v76
	v_pk_fma_f32 v[82:83], v[74:75], s[2:3], v[82:83] op_sel_hi:[1,0,1]
	s_barrier
	v_pk_mul_f32 v[86:87], v[82:83], s[12:13] op_sel_hi:[1,0]
	s_movk_i32 s13, 0x48
	v_pk_fma_f32 v[88:89], v[82:83], s[14:15], v[86:87] op_sel:[0,0,1] op_sel_hi:[1,0,0] neg_lo:[0,0,1] neg_hi:[0,0,1]
	v_pk_fma_f32 v[82:83], v[82:83], s[14:15], v[86:87] op_sel:[0,0,1] op_sel_hi:[1,0,0]
	v_pk_add_f32 v[86:87], v[36:37], v[8:9]
	v_mov_b32_e32 v89, v83
	v_pk_add_f32 v[82:83], v[24:25], v[4:5]
	v_pk_add_f32 v[86:87], v[86:87], v[28:29]
	;; [unrolled: 1-line block ×7, first 2 shown]
	v_mad_u32_u24 v64, v44, s13, v68
	v_pk_add_f32 v[92:93], v[82:83], v[86:87]
	v_pk_add_f32 v[94:95], v[90:91], v[88:89]
	ds_write2_b64 v64, v[92:93], v[94:95] offset1:1
	v_mov_b32_e32 v92, v28
	v_mov_b32_e32 v93, v32
	;; [unrolled: 1-line block ×4, first 2 shown]
	v_pk_add_f32 v[92:93], v[92:93], v[94:95] neg_lo:[0,1] neg_hi:[0,1]
	v_mov_b32_e32 v32, v9
	v_mov_b32_e32 v28, v93
	v_pk_add_f32 v[92:93], v[92:93], v[28:29]
	v_mov_b32_e32 v28, v29
	v_mov_b32_e32 v29, v33
	;; [unrolled: 1-line block ×3, first 2 shown]
	v_pk_add_f32 v[28:29], v[28:29], v[32:33] neg_lo:[0,1] neg_hi:[0,1]
	v_pk_add_f32 v[0:1], v[8:9], v[0:1]
	v_mov_b32_e32 v32, v29
	v_pk_add_f32 v[28:29], v[28:29], v[32:33]
	v_fma_f32 v32, -0.5, v0, v36
	v_fma_f32 v33, -0.5, v1, v37
	v_pk_add_f32 v[0:1], v[12:13], v[4:5] neg_lo:[0,1] neg_hi:[0,1]
	v_pk_add_f32 v[8:9], v[16:17], v[20:21] neg_lo:[0,1] neg_hi:[0,1]
	v_pk_add_f32 v[4:5], v[4:5], v[20:21]
	v_pk_add_f32 v[0:1], v[0:1], v[8:9]
	v_pk_fma_f32 v[4:5], v[4:5], 0.5, v[24:25] op_sel_hi:[1,0,1] neg_lo:[1,0,0] neg_hi:[1,0,0]
	v_pk_mul_f32 v[8:9], v[60:61], s[4:5] op_sel_hi:[1,0]
	v_mov_b32_e32 v93, v79
	v_pk_add_f32 v[12:13], v[4:5], v[8:9] op_sel:[0,1] op_sel_hi:[1,0]
	v_pk_add_f32 v[4:5], v[4:5], v[8:9] op_sel:[0,1] op_sel_hi:[1,0] neg_lo:[0,1] neg_hi:[0,1]
	v_pk_mul_f32 v[8:9], v[58:59], s[12:13] op_sel_hi:[1,0]
	v_mov_b32_e32 v29, v78
	v_fmamk_f32 v36, v81, 0x3f737871, v32
	v_fmac_f32_e32 v32, 0xbf737871, v81
	v_pk_add_f32 v[4:5], v[4:5], v[8:9] op_sel:[0,1] op_sel_hi:[1,0]
	v_pk_add_f32 v[8:9], v[12:13], v[8:9] op_sel:[0,1] op_sel_hi:[1,0] neg_lo:[0,1] neg_hi:[0,1]
	v_pk_mul_f32 v[12:13], v[92:93], s[2:3]
	v_fmamk_f32 v37, v80, 0xbf737871, v33
	v_fmac_f32_e32 v33, 0x3f737871, v80
	v_sub_f32_e32 v24, v36, v13
	v_pk_mul_f32 v[16:17], v[28:29], s[2:3]
	v_add_f32_e32 v13, v13, v32
	v_add_f32_e32 v20, v17, v37
	;; [unrolled: 1-line block ×4, first 2 shown]
	v_sub_f32_e32 v13, v33, v17
	v_add_f32_e32 v20, v16, v20
	v_add_f32_e32 v16, v16, v13
	v_pk_mul_f32 v[20:21], v[20:21], s[4:5] op_sel_hi:[0,1]
	v_pk_mul_f32 v[16:17], v[16:17], s[4:5] op_sel_hi:[0,1]
	v_pk_fma_f32 v[28:29], v[24:25], s[22:23], v[20:21] neg_lo:[0,0,1] neg_hi:[0,0,1]
	v_pk_fma_f32 v[20:21], v[24:25], s[22:23], v[20:21] op_sel_hi:[0,1,1]
	v_pk_fma_f32 v[12:13], v[12:13], s[16:17], v[16:17] op_sel_hi:[0,1,1] neg_lo:[0,0,1] neg_hi:[0,0,1]
	v_mov_b32_e32 v16, v8
	v_mov_b32_e32 v17, v5
	;; [unrolled: 1-line block ×4, first 2 shown]
	v_pk_fma_f32 v[8:9], v[0:1], s[2:3], v[16:17] op_sel_hi:[1,0,1]
	v_pk_fma_f32 v[0:1], v[0:1], s[2:3], v[4:5] op_sel_hi:[1,0,1]
	v_pk_add_f32 v[4:5], v[8:9], v[28:29]
	v_pk_add_f32 v[16:17], v[0:1], v[12:13]
	ds_write2_b64 v64, v[4:5], v[16:17] offset0:2 offset1:3
	v_pk_fma_f32 v[4:5], v[74:75], s[2:3], v[76:77] op_sel_hi:[1,0,1]
	v_mov_b32_e32 v67, v65
	v_pk_mul_f32 v[4:5], v[4:5], s[20:21] op_sel:[1,0]
	v_pk_fma_f32 v[16:17], v[62:63], s[2:3], v[66:67] op_sel_hi:[1,0,1]
	v_pk_fma_f32 v[4:5], v[84:85], s[18:19], v[4:5] op_sel_hi:[0,1,1]
	v_pk_add_f32 v[24:25], v[16:17], v[4:5]
	v_pk_add_f32 v[0:1], v[0:1], v[12:13] neg_lo:[0,1] neg_hi:[0,1]
	v_pk_add_f32 v[4:5], v[16:17], v[4:5] neg_lo:[0,1] neg_hi:[0,1]
	ds_write2_b64 v64, v[0:1], v[4:5] offset0:8 offset1:9
	v_mov_b32_e32 v0, v30
	v_mov_b32_e32 v1, v34
	;; [unrolled: 1-line block ×4, first 2 shown]
	v_pk_add_f32 v[0:1], v[0:1], v[4:5] neg_lo:[0,1] neg_hi:[0,1]
	v_pk_add_f32 v[20:21], v[82:83], v[86:87] neg_lo:[0,1] neg_hi:[0,1]
	v_mov_b32_e32 v4, v1
	v_pk_add_f32 v[8:9], v[8:9], v[28:29] neg_lo:[0,1] neg_hi:[0,1]
	v_pk_add_f32 v[28:29], v[0:1], v[4:5]
	v_pk_add_f32 v[0:1], v[30:31], v[34:35]
	ds_write2_b64 v64, v[24:25], v[20:21] offset0:4 offset1:5
	v_pk_add_f32 v[20:21], v[90:91], v[88:89] neg_lo:[0,1] neg_hi:[0,1]
	v_pk_fma_f32 v[0:1], v[0:1], 0.5, v[38:39] op_sel_hi:[1,0,1] neg_lo:[1,0,0] neg_hi:[1,0,0]
	v_pk_add_f32 v[36:37], v[30:31], v[34:35] neg_lo:[0,1] neg_hi:[0,1]
	ds_write2_b64 v64, v[20:21], v[8:9] offset0:6 offset1:7
	v_pk_add_f32 v[16:17], v[0:1], v[52:53] op_sel:[0,1] op_sel_hi:[1,0]
	v_pk_add_f32 v[8:9], v[0:1], v[52:53] op_sel:[0,1] op_sel_hi:[1,0] neg_lo:[0,1] neg_hi:[0,1]
	v_pk_mul_f32 v[52:53], v[36:37], s[12:13] op_sel_hi:[1,0]
	v_pk_add_f32 v[12:13], v[2:3], v[34:35] neg_lo:[0,1] neg_hi:[0,1]
	v_pk_add_f32 v[0:1], v[16:17], v[52:53] op_sel:[0,1] op_sel_hi:[1,0]
	v_pk_add_f32 v[4:5], v[8:9], v[52:53] op_sel:[0,1] op_sel_hi:[1,0] neg_lo:[0,1] neg_hi:[0,1]
	v_mov_b32_e32 v29, v51
	v_mov_b32_e32 v5, v1
	v_pk_add_f32 v[0:1], v[10:11], v[30:31] neg_lo:[0,1] neg_hi:[0,1]
	v_pk_add_f32 v[24:25], v[22:23], v[18:19] neg_lo:[0,1] neg_hi:[0,1]
	v_pk_add_f32 v[58:59], v[0:1], v[12:13]
	v_mov_b32_e32 v0, v31
	v_mov_b32_e32 v1, v35
	;; [unrolled: 1-line block ×4, first 2 shown]
	v_pk_add_f32 v[0:1], v[0:1], v[12:13] neg_lo:[0,1] neg_hi:[0,1]
	v_pk_mul_f32 v[62:63], v[28:29], s[2:3]
	v_mov_b32_e32 v12, v1
	v_pk_add_f32 v[32:33], v[0:1], v[12:13]
	v_pk_fma_f32 v[0:1], v[58:59], s[2:3], v[4:5] op_sel_hi:[1,0,1]
	v_mov_b32_e32 v33, v50
	v_pk_mul_f32 v[4:5], v[0:1], s[12:13] op_sel_hi:[1,0]
	v_pk_mul_f32 v[50:51], v[48:49], s[12:13] op_sel_hi:[1,0]
	v_pk_fma_f32 v[20:21], v[0:1], s[14:15], v[4:5] op_sel:[0,0,1] op_sel_hi:[1,0,0]
	v_pk_fma_f32 v[12:13], v[0:1], s[14:15], v[4:5] op_sel:[0,0,1] op_sel_hi:[1,0,0] neg_lo:[0,0,1] neg_hi:[0,0,1]
	v_pk_add_f32 v[0:1], v[14:15], v[18:19]
	v_mov_b32_e32 v13, v21
	v_pk_fma_f32 v[4:5], v[0:1], 0.5, v[26:27] op_sel_hi:[1,0,1] neg_lo:[1,0,0] neg_hi:[1,0,0]
	v_pk_mul_f32 v[64:65], v[32:33], s[2:3]
	v_pk_add_f32 v[0:1], v[4:5], v[54:55] op_sel:[0,1] op_sel_hi:[1,0]
	v_pk_add_f32 v[4:5], v[4:5], v[54:55] op_sel:[0,1] op_sel_hi:[1,0] neg_lo:[0,1] neg_hi:[0,1]
	v_pk_add_f32 v[20:21], v[0:1], v[50:51] op_sel:[0,1] op_sel_hi:[1,0]
	v_pk_add_f32 v[48:49], v[4:5], v[50:51] op_sel:[0,1] op_sel_hi:[1,0] neg_lo:[0,1] neg_hi:[0,1]
	v_pk_add_f32 v[54:55], v[18:19], v[22:23] neg_lo:[0,1] neg_hi:[0,1]
	v_mov_b32_e32 v49, v21
	v_pk_add_f32 v[20:21], v[6:7], v[14:15] neg_lo:[0,1] neg_hi:[0,1]
	s_nop 0
	v_pk_add_f32 v[60:61], v[20:21], v[24:25]
	v_pk_add_f32 v[20:21], v[6:7], v[22:23]
	s_nop 0
	v_pk_fma_f32 v[24:25], v[20:21], 0.5, v[26:27] op_sel_hi:[1,0,1] neg_lo:[1,0,0] neg_hi:[1,0,0]
	s_nop 0
	v_pk_add_f32 v[20:21], v[24:25], v[56:57] op_sel:[0,1] op_sel_hi:[1,0] neg_lo:[0,1] neg_hi:[0,1]
	v_pk_add_f32 v[24:25], v[24:25], v[56:57] op_sel:[0,1] op_sel_hi:[1,0]
	v_pk_mul_f32 v[56:57], v[46:47], s[12:13] op_sel_hi:[1,0]
	s_mov_b32 s12, 0xbf737871
	v_pk_add_f32 v[46:47], v[20:21], v[56:57] op_sel:[0,1] op_sel_hi:[1,0]
	v_pk_add_f32 v[76:77], v[24:25], v[56:57] op_sel:[0,1] op_sel_hi:[1,0] neg_lo:[0,1] neg_hi:[0,1]
	s_nop 0
	v_mov_b32_e32 v77, v47
	v_pk_add_f32 v[46:47], v[14:15], v[6:7] neg_lo:[0,1] neg_hi:[0,1]
	s_nop 0
	v_pk_add_f32 v[66:67], v[46:47], v[54:55]
	v_pk_add_f32 v[46:47], v[10:11], v[2:3]
	s_nop 0
	v_fma_f32 v75, -0.5, v46, v38
	v_fma_f32 v74, -0.5, v47, v39
	v_fmamk_f32 v28, v37, 0x3f737871, v75
	v_sub_f32_e32 v46, v28, v63
	v_fmamk_f32 v28, v36, 0xbf737871, v74
	v_add_f32_e32 v28, v65, v28
	v_add_f32_e32 v28, v64, v28
	v_pk_mul_f32 v[28:29], v[28:29], s[4:5] op_sel_hi:[0,1]
	v_add_f32_e32 v32, v62, v46
	v_pk_fma_f32 v[54:55], v[32:33], s[22:23], v[28:29] op_sel_hi:[0,1,1]
	v_pk_fma_f32 v[46:47], v[32:33], s[22:23], v[28:29] op_sel_hi:[0,1,1] neg_lo:[0,0,1] neg_hi:[0,0,1]
	v_mov_b32_e32 v47, v55
	v_pk_fma_f32 v[54:55], v[60:61], s[2:3], v[48:49] op_sel_hi:[1,0,1]
	v_pk_fma_f32 v[48:49], v[66:67], s[2:3], v[76:77] op_sel_hi:[1,0,1]
	v_pk_add_f32 v[28:29], v[54:55], v[12:13] neg_lo:[0,1] neg_hi:[0,1]
	v_pk_add_f32 v[32:33], v[48:49], v[46:47] neg_lo:[0,1] neg_hi:[0,1]
	s_and_saveexec_b64 s[4:5], vcc
	s_cbranch_execz .LBB0_21
; %bb.20:
	v_pk_add_f32 v[6:7], v[26:27], v[6:7]
	v_pk_add_f32 v[10:11], v[38:39], v[10:11]
	v_mov_b32_e32 v76, v53
	v_mov_b32_e32 v77, v52
	v_pk_add_f32 v[6:7], v[6:7], v[14:15]
	v_pk_add_f32 v[10:11], v[10:11], v[30:31]
	v_mul_f32_e32 v78, 0x3f737871, v37
	v_pk_mul_f32 v[52:53], v[58:59], s[2:3] op_sel_hi:[1,0]
	v_mul_f32_e32 v79, 0x3f737871, v36
	v_mov_b32_e32 v36, v51
	v_mov_b32_e32 v37, v50
	v_pk_mul_f32 v[50:51], v[60:61], s[2:3] op_sel_hi:[1,0]
	v_mul_u32_u24_e32 v61, 0x48, v44
	v_pk_add_f32 v[16:17], v[76:77], v[16:17]
	v_pk_add_f32 v[8:9], v[8:9], v[76:77] neg_lo:[0,1] neg_hi:[0,1]
	v_pk_add_f32 v[6:7], v[6:7], v[18:19]
	v_pk_add_f32 v[10:11], v[10:11], v[34:35]
	;; [unrolled: 1-line block ×4, first 2 shown]
	v_add_f32_e32 v53, v79, v74
	v_pk_add_f32 v[6:7], v[6:7], v[22:23]
	v_pk_add_f32 v[2:3], v[10:11], v[2:3]
	v_add_u32_e32 v22, v68, v61
	v_mov_b32_e32 v58, v57
	v_mov_b32_e32 v59, v56
	v_sub_f32_e32 v52, v75, v78
	v_sub_f32_e32 v53, v53, v65
	v_pk_add_f32 v[10:11], v[6:7], v[2:3]
	v_add_u32_e32 v14, 0x1c20, v22
	v_pk_add_f32 v[12:13], v[54:55], v[12:13]
	v_add_f32_e32 v52, v63, v52
	v_add_f32_e32 v60, v64, v53
	ds_write2_b64 v14, v[10:11], v[12:13] offset1:1
	v_pk_add_f32 v[12:13], v[20:21], v[58:59]
	v_pk_add_f32 v[14:15], v[24:25], v[58:59] neg_lo:[0,1] neg_hi:[0,1]
	s_mov_b32 s13, s16
	v_pk_mul_f32 v[56:57], v[66:67], s[2:3] op_sel_hi:[1,0]
	v_add_f32_e32 v52, v62, v52
	v_mov_b32_e32 v13, v15
	v_pk_mul_f32 v[14:15], v[60:61], s[12:13] op_sel_hi:[0,1]
	v_pk_add_f32 v[0:1], v[0:1], v[36:37]
	v_pk_add_f32 v[4:5], v[4:5], v[36:37] neg_lo:[0,1] neg_hi:[0,1]
	v_pk_add_f32 v[12:13], v[56:57], v[12:13]
	v_pk_fma_f32 v[14:15], v[52:53], s[16:17], v[14:15] op_sel_hi:[0,1,1]
	v_mov_b32_e32 v1, v5
	v_pk_mul_f32 v[4:5], v[8:9], s[20:21] op_sel:[1,0]
	v_pk_add_f32 v[10:11], v[48:49], v[46:47]
	v_add_u32_e32 v23, 0x1c30, v22
	v_pk_add_f32 v[18:19], v[12:13], v[14:15]
	v_pk_add_f32 v[0:1], v[50:51], v[0:1]
	v_pk_fma_f32 v[4:5], v[16:17], s[18:19], v[4:5] op_sel_hi:[0,1,1]
	ds_write2_b64 v23, v[10:11], v[18:19] offset1:1
	v_pk_add_f32 v[8:9], v[0:1], v[4:5]
	v_add_u32_e32 v10, 0x1c40, v22
	v_pk_add_f32 v[2:3], v[6:7], v[2:3] neg_lo:[0,1] neg_hi:[0,1]
	ds_write2_b64 v10, v[8:9], v[2:3] offset1:1
	v_add_u32_e32 v2, 0x1c50, v22
	ds_write2_b64 v2, v[28:29], v[32:33] offset1:1
	v_pk_add_f32 v[2:3], v[12:13], v[14:15] neg_lo:[0,1] neg_hi:[0,1]
	v_add_u32_e32 v6, 0x1c60, v22
	v_pk_add_f32 v[0:1], v[0:1], v[4:5] neg_lo:[0,1] neg_hi:[0,1]
	ds_write2_b64 v6, v[2:3], v[0:1] offset1:1
.LBB0_21:
	s_or_b64 exec, exec, s[4:5]
	s_movk_i32 s2, 0xcd
	v_mul_lo_u16_sdwa v0, v44, s2 dst_sel:DWORD dst_unused:UNUSED_PAD src0_sel:BYTE_0 src1_sel:DWORD
	v_lshrrev_b16_e32 v38, 11, v0
	v_mul_lo_u16_e32 v0, 10, v38
	v_sub_u16_e32 v39, v44, v0
	v_mov_b32_e32 v0, 15
	v_mul_u32_u24_sdwa v0, v39, v0 dst_sel:DWORD dst_unused:UNUSED_PAD src0_sel:BYTE_0 src1_sel:DWORD
	v_lshlrev_b32_e32 v34, 3, v0
	s_waitcnt lgkmcnt(0)
	s_barrier
	global_load_dwordx4 v[0:3], v34, s[8:9]
	global_load_dwordx4 v[4:7], v34, s[8:9] offset:16
	global_load_dwordx4 v[8:11], v34, s[8:9] offset:32
	;; [unrolled: 1-line block ×6, first 2 shown]
	global_load_dwordx2 v[30:31], v34, s[8:9] offset:112
	ds_read2_b64 v[34:37], v68 offset1:90
	v_add_u32_e32 v89, 0x400, v68
	ds_read2_b64 v[46:49], v69 offset0:104 offset1:194
	ds_read2_b64 v[50:53], v45 offset0:28 offset1:118
	;; [unrolled: 1-line block ×5, first 2 shown]
	v_add_u32_e32 v66, 0x2400, v68
	ds_read2_b64 v[74:77], v89 offset0:52 offset1:142
	ds_read2_b64 v[78:81], v66 offset0:108 offset1:198
	v_mul_u32_u24_e32 v38, 0xa0, v38
	v_or_b32_sdwa v38, v38, v39 dst_sel:DWORD dst_unused:UNUSED_PAD src0_sel:DWORD src1_sel:BYTE_0
	v_lshl_add_u32 v73, v38, 3, 0
	s_mov_b32 s2, 0x3f3504f3
	s_mov_b32 s4, 0x3f6c835e
	;; [unrolled: 1-line block ×3, first 2 shown]
	s_waitcnt lgkmcnt(0)
	s_barrier
	v_cmp_gt_u32_e32 vcc, 30, v44
	s_waitcnt vmcnt(7)
	v_pk_mul_f32 v[38:39], v[0:1], v[36:37] op_sel:[0,1]
	v_pk_mul_f32 v[66:67], v[2:3], v[74:75] op_sel:[0,1]
	s_waitcnt vmcnt(6)
	v_pk_mul_f32 v[82:83], v[4:5], v[76:77] op_sel:[0,1]
	s_waitcnt vmcnt(5)
	v_pk_mul_f32 v[86:87], v[48:49], v[8:9] op_sel:[0,1]
	v_mov_b32_e32 v88, v11
	v_pk_mul_f32 v[84:85], v[6:7], v[46:47] op_sel:[0,1]
	s_waitcnt vmcnt(4)
	v_pk_mul_f32 v[90:91], v[52:53], v[12:13] op_sel:[0,1]
	v_mov_b32_e32 v92, v15
	v_pk_fma_f32 v[94:95], v[0:1], v[36:37], v[38:39] op_sel:[0,0,1] op_sel_hi:[1,1,0]
	v_pk_fma_f32 v[0:1], v[0:1], v[36:37], v[38:39] op_sel:[0,0,1] op_sel_hi:[1,0,0] neg_lo:[1,0,0] neg_hi:[1,0,0]
	v_pk_fma_f32 v[36:37], v[2:3], v[74:75], v[66:67] op_sel:[0,0,1] op_sel_hi:[1,1,0]
	v_pk_fma_f32 v[2:3], v[2:3], v[74:75], v[66:67] op_sel:[0,0,1] op_sel_hi:[1,0,0] neg_lo:[1,0,0] neg_hi:[1,0,0]
	;; [unrolled: 2-line block ×4, first 2 shown]
	v_pk_mul_f32 v[48:49], v[50:51], v[88:89] op_sel_hi:[1,0]
	s_waitcnt vmcnt(3)
	v_pk_mul_f32 v[38:39], v[56:57], v[16:17] op_sel:[0,1]
	v_mov_b32_e32 v0, v19
	v_pk_fma_f32 v[74:75], v[6:7], v[46:47], v[84:85] op_sel:[0,0,1] op_sel_hi:[1,1,0]
	v_pk_fma_f32 v[6:7], v[6:7], v[46:47], v[84:85] op_sel:[0,0,1] op_sel_hi:[1,0,0] neg_lo:[1,0,0] neg_hi:[1,0,0]
	s_waitcnt vmcnt(2)
	v_pk_mul_f32 v[46:47], v[60:61], v[20:21] op_sel:[0,1]
	v_mov_b32_e32 v2, v23
	v_pk_fma_f32 v[82:83], v[50:51], v[10:11], v[48:49] op_sel:[0,0,1] op_sel_hi:[1,1,0]
	v_pk_fma_f32 v[10:11], v[50:51], v[10:11], v[48:49] op_sel:[0,0,1] op_sel_hi:[1,0,0] neg_lo:[0,0,1] neg_hi:[0,0,1]
	s_waitcnt vmcnt(1)
	v_pk_mul_f32 v[48:49], v[64:65], v[24:25] op_sel:[0,1]
	v_pk_fma_f32 v[50:51], v[52:53], v[12:13], v[90:91] op_sel:[0,0,1] op_sel_hi:[1,1,0]
	v_pk_fma_f32 v[12:13], v[52:53], v[12:13], v[90:91] op_sel:[0,0,1] op_sel_hi:[1,0,0] neg_lo:[0,0,1] neg_hi:[0,0,1]
	v_mov_b32_e32 v4, v27
	v_pk_mul_f32 v[52:53], v[54:55], v[92:93] op_sel_hi:[1,0]
	v_pk_fma_f32 v[84:85], v[56:57], v[16:17], v[38:39] op_sel:[0,0,1] op_sel_hi:[1,1,0]
	v_pk_fma_f32 v[16:17], v[56:57], v[16:17], v[38:39] op_sel:[0,0,1] op_sel_hi:[1,0,0] neg_lo:[0,0,1] neg_hi:[0,0,1]
	v_pk_mul_f32 v[38:39], v[58:59], v[0:1] op_sel_hi:[1,0]
	v_mov_b32_e32 v95, v1
	v_pk_fma_f32 v[0:1], v[60:61], v[20:21], v[46:47] op_sel:[0,0,1] op_sel_hi:[1,1,0]
	v_pk_fma_f32 v[20:21], v[60:61], v[20:21], v[46:47] op_sel:[0,0,1] op_sel_hi:[1,0,0] neg_lo:[0,0,1] neg_hi:[0,0,1]
	v_pk_mul_f32 v[46:47], v[62:63], v[2:3] op_sel_hi:[1,0]
	v_mov_b32_e32 v37, v3
	;; [unrolled: 4-line block ×3, first 2 shown]
	v_mov_b32_e32 v75, v7
	v_pk_fma_f32 v[4:5], v[54:55], v[14:15], v[52:53] op_sel:[0,0,1] op_sel_hi:[1,1,0]
	v_pk_fma_f32 v[6:7], v[54:55], v[14:15], v[52:53] op_sel:[0,0,1] op_sel_hi:[1,0,0] neg_lo:[0,0,1] neg_hi:[0,0,1]
	v_mov_b32_e32 v77, v9
	v_mov_b32_e32 v51, v13
	v_pk_fma_f32 v[8:9], v[58:59], v[18:19], v[38:39] op_sel:[0,0,1] op_sel_hi:[1,1,0]
	v_pk_fma_f32 v[12:13], v[58:59], v[18:19], v[38:39] op_sel:[0,0,1] op_sel_hi:[1,0,0] neg_lo:[0,0,1] neg_hi:[0,0,1]
	v_pk_fma_f32 v[18:19], v[78:79], v[26:27], v[48:49] op_sel:[0,0,1] op_sel_hi:[1,1,0]
	v_mov_b32_e32 v5, v7
	v_pk_fma_f32 v[6:7], v[78:79], v[26:27], v[48:49] op_sel:[0,0,1] op_sel_hi:[1,0,0] neg_lo:[0,0,1] neg_hi:[0,0,1]
	v_mov_b32_e32 v83, v11
	v_mov_b32_e32 v19, v7
	s_waitcnt vmcnt(0)
	v_pk_mul_f32 v[6:7], v[80:81], v[30:31] op_sel:[0,1]
	v_mov_b32_e32 v85, v17
	v_pk_fma_f32 v[10:11], v[80:81], v[30:31], v[6:7] op_sel:[0,0,1] op_sel_hi:[1,1,0]
	v_pk_fma_f32 v[6:7], v[80:81], v[30:31], v[6:7] op_sel:[0,0,1] op_sel_hi:[1,0,0] neg_lo:[0,0,1] neg_hi:[0,0,1]
	v_mov_b32_e32 v1, v21
	v_mov_b32_e32 v3, v25
	;; [unrolled: 1-line block ×3, first 2 shown]
	v_pk_fma_f32 v[14:15], v[62:63], v[22:23], v[46:47] op_sel:[0,0,1] op_sel_hi:[1,1,0]
	v_pk_fma_f32 v[16:17], v[62:63], v[22:23], v[46:47] op_sel:[0,0,1] op_sel_hi:[1,0,0] neg_lo:[0,0,1] neg_hi:[0,0,1]
	v_pk_add_f32 v[4:5], v[34:35], v[4:5] neg_lo:[0,1] neg_hi:[0,1]
	v_pk_add_f32 v[22:23], v[94:95], v[84:85] neg_lo:[0,1] neg_hi:[0,1]
	;; [unrolled: 1-line block ×5, first 2 shown]
	v_pk_fma_f32 v[6:7], v[34:35], 2.0, v[4:5] op_sel_hi:[1,0,1] neg_lo:[0,0,1] neg_hi:[0,0,1]
	v_pk_fma_f32 v[24:25], v[94:95], 2.0, v[22:23] op_sel_hi:[1,0,1] neg_lo:[0,0,1] neg_hi:[0,0,1]
	;; [unrolled: 1-line block ×5, first 2 shown]
	v_mov_b32_e32 v9, v13
	v_mov_b32_e32 v15, v17
	v_pk_add_f32 v[26:27], v[24:25], v[26:27] neg_lo:[0,1] neg_hi:[0,1]
	v_pk_add_f32 v[34:35], v[30:31], v[34:35] neg_lo:[0,1] neg_hi:[0,1]
	;; [unrolled: 1-line block ×5, first 2 shown]
	v_pk_fma_f32 v[24:25], v[24:25], 2.0, v[26:27] op_sel_hi:[1,0,1] neg_lo:[0,0,1] neg_hi:[0,0,1]
	v_pk_fma_f32 v[30:31], v[30:31], 2.0, v[34:35] op_sel_hi:[1,0,1] neg_lo:[0,0,1] neg_hi:[0,0,1]
	;; [unrolled: 1-line block ×5, first 2 shown]
	v_pk_add_f32 v[36:37], v[24:25], v[30:31] neg_lo:[0,1] neg_hi:[0,1]
	v_pk_add_f32 v[30:31], v[4:5], v[12:13] op_sel:[0,1] op_sel_hi:[1,0]
	v_pk_add_f32 v[12:13], v[4:5], v[12:13] op_sel:[0,1] op_sel_hi:[1,0] neg_lo:[0,1] neg_hi:[0,1]
	v_pk_add_f32 v[38:39], v[8:9], v[18:19] op_sel:[0,1] op_sel_hi:[1,0]
	v_pk_add_f32 v[18:19], v[8:9], v[18:19] op_sel:[0,1] op_sel_hi:[1,0] neg_lo:[0,1] neg_hi:[0,1]
	v_mov_b32_e32 v31, v13
	v_mov_b32_e32 v39, v19
	v_pk_add_f32 v[18:19], v[22:23], v[2:3] op_sel:[0,1] op_sel_hi:[1,0]
	v_pk_add_f32 v[2:3], v[22:23], v[2:3] op_sel:[0,1] op_sel_hi:[1,0] neg_lo:[0,1] neg_hi:[0,1]
	v_pk_add_f32 v[46:47], v[0:1], v[10:11] op_sel:[0,1] op_sel_hi:[1,0]
	v_pk_add_f32 v[10:11], v[0:1], v[10:11] op_sel:[0,1] op_sel_hi:[1,0] neg_lo:[0,1] neg_hi:[0,1]
	v_pk_fma_f32 v[4:5], v[4:5], 2.0, v[30:31] op_sel_hi:[1,0,1] neg_lo:[0,0,1] neg_hi:[0,0,1]
	v_pk_fma_f32 v[8:9], v[8:9], 2.0, v[38:39] op_sel_hi:[1,0,1] neg_lo:[0,0,1] neg_hi:[0,0,1]
	v_mov_b32_e32 v19, v3
	v_mov_b32_e32 v47, v11
	v_pk_fma_f32 v[22:23], v[22:23], 2.0, v[18:19] op_sel_hi:[1,0,1] neg_lo:[0,0,1] neg_hi:[0,0,1]
	v_pk_fma_f32 v[0:1], v[0:1], 2.0, v[46:47] op_sel_hi:[1,0,1] neg_lo:[0,0,1] neg_hi:[0,0,1]
	v_pk_mul_f32 v[10:11], v[8:9], s[2:3] op_sel_hi:[1,0]
	v_pk_fma_f32 v[8:9], v[8:9], s[2:3], v[4:5] op_sel_hi:[1,0,1] neg_lo:[1,0,0] neg_hi:[1,0,0]
	v_pk_add_f32 v[14:15], v[6:7], v[14:15] neg_lo:[0,1] neg_hi:[0,1]
	v_pk_add_f32 v[48:49], v[8:9], v[10:11] op_sel:[0,1] op_sel_hi:[1,0]
	v_pk_add_f32 v[8:9], v[8:9], v[10:11] op_sel:[0,1] op_sel_hi:[1,0] neg_lo:[0,1] neg_hi:[0,1]
	v_pk_mul_f32 v[10:11], v[0:1], s[2:3] op_sel_hi:[1,0]
	v_pk_fma_f32 v[0:1], v[0:1], s[2:3], v[22:23] op_sel_hi:[1,0,1] neg_lo:[1,0,0] neg_hi:[1,0,0]
	v_mov_b32_e32 v49, v9
	v_pk_add_f32 v[50:51], v[0:1], v[10:11] op_sel:[0,1] op_sel_hi:[1,0]
	v_pk_add_f32 v[0:1], v[0:1], v[10:11] op_sel:[0,1] op_sel_hi:[1,0] neg_lo:[0,1] neg_hi:[0,1]
	v_pk_fma_f32 v[4:5], v[4:5], 2.0, v[48:49] op_sel_hi:[1,0,1] neg_lo:[0,0,1] neg_hi:[0,0,1]
	v_mov_b32_e32 v51, v1
	v_pk_fma_f32 v[10:11], v[22:23], 2.0, v[50:51] op_sel_hi:[1,0,1] neg_lo:[0,0,1] neg_hi:[0,0,1]
	v_pk_add_f32 v[20:21], v[16:17], v[20:21] neg_lo:[0,1] neg_hi:[0,1]
	v_pk_fma_f32 v[22:23], v[10:11], s[4:5], v[4:5] op_sel_hi:[1,0,1] neg_lo:[1,0,0] neg_hi:[1,0,0]
	v_pk_mul_f32 v[10:11], v[10:11], s[12:13] op_sel_hi:[1,0]
	v_pk_fma_f32 v[6:7], v[6:7], 2.0, v[14:15] op_sel_hi:[1,0,1] neg_lo:[0,0,1] neg_hi:[0,0,1]
	v_pk_add_f32 v[52:53], v[22:23], v[10:11] op_sel:[0,1] op_sel_hi:[1,0]
	v_pk_add_f32 v[10:11], v[22:23], v[10:11] op_sel:[0,1] op_sel_hi:[1,0] neg_lo:[0,1] neg_hi:[0,1]
	v_pk_fma_f32 v[16:17], v[16:17], 2.0, v[20:21] op_sel_hi:[1,0,1] neg_lo:[0,0,1] neg_hi:[0,0,1]
	v_mov_b32_e32 v53, v11
	v_fmamk_f32 v11, v1, 0x3ec3ef15, v9
	v_fmamk_f32 v10, v50, 0x3ec3ef15, v48
	v_fmac_f32_e32 v11, 0xbf6c835e, v50
	v_fmac_f32_e32 v10, 0x3f6c835e, v1
	v_fma_f32 v1, v9, 2.0, -v11
	v_pk_mul_f32 v[8:9], v[38:39], s[2:3] op_sel_hi:[1,0]
	v_pk_fma_f32 v[22:23], v[38:39], s[2:3], v[30:31] op_sel_hi:[1,0,1]
	v_pk_add_f32 v[16:17], v[6:7], v[16:17] neg_lo:[0,1] neg_hi:[0,1]
	v_fma_f32 v0, v48, 2.0, -v10
	v_pk_add_f32 v[48:49], v[22:23], v[8:9] op_sel:[0,1] op_sel_hi:[1,0]
	v_pk_add_f32 v[8:9], v[22:23], v[8:9] op_sel:[0,1] op_sel_hi:[1,0] neg_lo:[0,1] neg_hi:[0,1]
	v_pk_fma_f32 v[6:7], v[6:7], 2.0, v[16:17] op_sel_hi:[1,0,1] neg_lo:[0,0,1] neg_hi:[0,0,1]
	v_pk_fma_f32 v[24:25], v[24:25], 2.0, v[36:37] op_sel_hi:[1,0,1] neg_lo:[0,0,1] neg_hi:[0,0,1]
	v_mov_b32_e32 v49, v9
	v_fma_f32 v31, v13, 2.0, -v9
	v_pk_mul_f32 v[8:9], v[46:47], s[2:3] op_sel_hi:[1,0]
	v_pk_fma_f32 v[12:13], v[46:47], s[2:3], v[18:19] op_sel_hi:[1,0,1]
	v_pk_add_f32 v[24:25], v[6:7], v[24:25] neg_lo:[0,1] neg_hi:[0,1]
	v_pk_add_f32 v[22:23], v[12:13], v[8:9] op_sel:[0,1] op_sel_hi:[1,0]
	v_pk_add_f32 v[8:9], v[12:13], v[8:9] op_sel:[0,1] op_sel_hi:[1,0] neg_lo:[0,1] neg_hi:[0,1]
	v_pk_fma_f32 v[6:7], v[6:7], 2.0, v[24:25] op_sel_hi:[1,0,1] neg_lo:[0,0,1] neg_hi:[0,0,1]
	v_pk_fma_f32 v[4:5], v[4:5], 2.0, v[52:53] op_sel_hi:[1,0,1] neg_lo:[0,0,1] neg_hi:[0,0,1]
	v_fma_f32 v30, v30, 2.0, -v48
	v_mov_b32_e32 v23, v9
	v_fma_f32 v8, v18, 2.0, -v22
	v_fma_f32 v9, v3, 2.0, -v9
	v_fmamk_f32 v2, v8, 0xbec3ef15, v30
	v_fmamk_f32 v3, v9, 0xbec3ef15, v31
	ds_write2_b64 v73, v[6:7], v[4:5] offset1:10
	v_pk_add_f32 v[4:5], v[14:15], v[20:21] op_sel:[0,1] op_sel_hi:[1,0]
	v_pk_add_f32 v[6:7], v[14:15], v[20:21] op_sel:[0,1] op_sel_hi:[1,0] neg_lo:[0,1] neg_hi:[0,1]
	v_fmac_f32_e32 v2, 0x3f6c835e, v9
	v_fmac_f32_e32 v3, 0xbf6c835e, v8
	v_pk_fma_f32 v[12:13], v[22:23], s[4:5], v[48:49] op_sel_hi:[1,0,1]
	v_pk_mul_f32 v[18:19], v[22:23], s[12:13] op_sel_hi:[1,0]
	v_mov_b32_e32 v5, v7
	v_fma_f32 v8, v30, 2.0, -v2
	v_fma_f32 v9, v31, 2.0, -v3
	v_pk_add_f32 v[30:31], v[12:13], v[18:19] op_sel:[0,1] op_sel_hi:[1,0]
	v_pk_add_f32 v[38:39], v[12:13], v[18:19] op_sel:[0,1] op_sel_hi:[1,0] neg_lo:[0,1] neg_hi:[0,1]
	v_pk_fma_f32 v[6:7], v[14:15], 2.0, v[4:5] op_sel_hi:[1,0,1] neg_lo:[0,0,1] neg_hi:[0,0,1]
	v_pk_add_f32 v[12:13], v[26:27], v[34:35] op_sel:[0,1] op_sel_hi:[1,0]
	v_pk_add_f32 v[14:15], v[26:27], v[34:35] op_sel:[0,1] op_sel_hi:[1,0] neg_lo:[0,1] neg_hi:[0,1]
	v_mov_b32_e32 v31, v39
	v_mov_b32_e32 v13, v15
	v_pk_fma_f32 v[14:15], v[26:27], 2.0, v[12:13] op_sel_hi:[1,0,1] neg_lo:[0,0,1] neg_hi:[0,0,1]
	s_nop 0
	v_pk_mul_f32 v[18:19], v[14:15], s[2:3] op_sel_hi:[1,0]
	v_pk_fma_f32 v[14:15], v[14:15], s[2:3], v[6:7] op_sel_hi:[1,0,1] neg_lo:[1,0,0] neg_hi:[1,0,0]
	s_nop 0
	v_pk_add_f32 v[20:21], v[14:15], v[18:19] op_sel:[0,1] op_sel_hi:[1,0]
	v_pk_add_f32 v[14:15], v[14:15], v[18:19] op_sel:[0,1] op_sel_hi:[1,0] neg_lo:[0,1] neg_hi:[0,1]
	s_nop 0
	v_mov_b32_e32 v21, v15
	v_pk_fma_f32 v[6:7], v[6:7], 2.0, v[20:21] op_sel_hi:[1,0,1] neg_lo:[0,0,1] neg_hi:[0,0,1]
	ds_write2_b64 v73, v[6:7], v[8:9] offset0:20 offset1:30
	v_pk_add_f32 v[6:7], v[16:17], v[36:37] op_sel:[0,1] op_sel_hi:[1,0]
	v_pk_add_f32 v[8:9], v[16:17], v[36:37] op_sel:[0,1] op_sel_hi:[1,0] neg_lo:[0,1] neg_hi:[0,1]
	s_nop 0
	v_mov_b32_e32 v7, v9
	v_pk_fma_f32 v[8:9], v[16:17], 2.0, v[6:7] op_sel_hi:[1,0,1] neg_lo:[0,0,1] neg_hi:[0,0,1]
	ds_write2_b64 v73, v[8:9], v[0:1] offset0:40 offset1:50
	v_pk_mul_f32 v[0:1], v[12:13], s[2:3] op_sel_hi:[1,0]
	v_pk_fma_f32 v[8:9], v[12:13], s[2:3], v[4:5] op_sel_hi:[1,0,1]
	v_cmp_lt_u32_e64 s[2:3], 29, v44
	v_pk_add_f32 v[12:13], v[8:9], v[0:1] op_sel:[0,1] op_sel_hi:[1,0]
	v_pk_add_f32 v[0:1], v[8:9], v[0:1] op_sel:[0,1] op_sel_hi:[1,0] neg_lo:[0,1] neg_hi:[0,1]
	s_nop 0
	v_mov_b32_e32 v13, v1
	v_pk_fma_f32 v[0:1], v[4:5], 2.0, v[12:13] op_sel_hi:[1,0,1] neg_lo:[0,0,1] neg_hi:[0,0,1]
	v_pk_fma_f32 v[4:5], v[48:49], 2.0, v[30:31] op_sel_hi:[1,0,1] neg_lo:[0,0,1] neg_hi:[0,0,1]
	ds_write2_b64 v73, v[0:1], v[4:5] offset0:60 offset1:70
	ds_write2_b64 v73, v[24:25], v[52:53] offset0:80 offset1:90
	;; [unrolled: 1-line block ×5, first 2 shown]
	s_waitcnt lgkmcnt(0)
	s_barrier
	ds_read2_b64 v[12:15], v68 offset1:90
	ds_read2_b64 v[0:3], v69 offset0:104 offset1:224
	ds_read2_b64 v[16:19], v72 offset0:64 offset1:154
	;; [unrolled: 1-line block ×6, first 2 shown]
	ds_read_b64 v[36:37], v68 offset:10560
	s_and_saveexec_b64 s[4:5], vcc
	s_cbranch_execz .LBB0_23
; %bb.22:
	ds_read_b64 v[30:31], v68 offset:3600
	ds_read_b64 v[28:29], v68 offset:7440
	;; [unrolled: 1-line block ×3, first 2 shown]
	s_waitcnt lgkmcnt(2)
	v_mov_b32_e32 v39, v31
.LBB0_23:
	s_or_b64 exec, exec, s[4:5]
	v_add_u32_e32 v45, 0x10e, v44
	s_mov_b32 s12, 0xcccd
	v_mul_u32_u24_sdwa v31, v45, s12 dst_sel:DWORD dst_unused:UNUSED_PAD src0_sel:WORD_0 src1_sel:DWORD
	v_lshrrev_b32_e32 v49, 23, v31
	v_add_u32_e32 v38, 0x1c2, v44
	v_mul_lo_u16_e32 v31, 0xa0, v49
	v_lshlrev_b32_e32 v66, 1, v44
	v_mov_b32_e32 v67, 0
	v_sub_u16_e32 v69, v45, v31
	v_mul_u32_u24_sdwa v31, v38, s12 dst_sel:DWORD dst_unused:UNUSED_PAD src0_sel:WORD_0 src1_sel:DWORD
	v_lshl_add_u64 v[34:35], v[66:67], 3, s[8:9]
	v_lshrrev_b32_e32 v31, 23, v31
	global_load_dwordx4 v[50:53], v[34:35], off offset:1200
	v_mul_lo_u16_e32 v31, 0xa0, v31
	v_sub_u16_e32 v48, v38, v31
	v_lshlrev_b32_e32 v31, 4, v48
	global_load_dwordx4 v[54:57], v31, s[8:9] offset:1200
	v_lshlrev_b32_e32 v31, 4, v69
	global_load_dwordx4 v[58:61], v31, s[8:9] offset:1200
	v_add_u32_e32 v66, 40, v66
	v_lshl_add_u64 v[46:47], v[66:67], 3, s[8:9]
	global_load_dwordx4 v[62:65], v[46:47], off offset:1200
	s_movk_i32 s4, 0x46
	v_add_u32_e32 v47, 0x5a, v44
	v_add_u32_e32 v31, 0xffffffba, v44
	v_cmp_gt_u32_e64 s[4:5], s4, v44
	v_add_u32_e32 v46, 0x168, v44
	v_mul_u32_u24_e32 v49, 0xf00, v49
	v_cndmask_b32_e64 v78, v31, v47, s[4:5]
	v_lshlrev_b32_e32 v66, 1, v78
	v_lshl_add_u64 v[66:67], v[66:67], 3, s[8:9]
	global_load_dwordx4 v[70:73], v[66:67], off offset:1200
	v_mul_u32_u24_sdwa v31, v46, s12 dst_sel:DWORD dst_unused:UNUSED_PAD src0_sel:WORD_0 src1_sel:DWORD
	v_lshrrev_b32_e32 v31, 23, v31
	v_mul_lo_u16_e32 v31, 0xa0, v31
	v_sub_u16_e32 v83, v46, v31
	v_lshlrev_b32_e32 v31, 4, v83
	global_load_dwordx4 v[74:77], v31, s[8:9] offset:1200
	s_movk_i32 s4, 0x45
	v_mov_b32_e32 v31, v39
	v_mov_b32_e32 v39, 0xf00
	v_cmp_lt_u32_e64 s[4:5], s4, v44
	v_lshlrev_b32_e32 v66, 3, v78
	s_mov_b32 s12, 0x3f5db3d7
	v_cndmask_b32_e64 v39, 0, v39, s[4:5]
	v_add3_u32 v39, 0, v39, v66
	v_lshlrev_b32_e32 v66, 3, v69
	v_add3_u32 v49, 0, v49, v66
	s_waitcnt lgkmcnt(0)
	s_barrier
	s_waitcnt vmcnt(5)
	v_pk_mul_f32 v[66:67], v[50:51], v[2:3] op_sel:[0,1]
	v_pk_mul_f32 v[78:79], v[52:53], v[16:17] op_sel:[0,1]
	v_pk_fma_f32 v[80:81], v[50:51], v[2:3], v[66:67] op_sel:[0,0,1] op_sel_hi:[1,1,0]
	v_pk_fma_f32 v[2:3], v[50:51], v[2:3], v[66:67] op_sel:[0,0,1] op_sel_hi:[1,0,0] neg_lo:[1,0,0] neg_hi:[1,0,0]
	v_pk_fma_f32 v[50:51], v[52:53], v[16:17], v[78:79] op_sel:[0,0,1] op_sel_hi:[1,1,0]
	v_pk_fma_f32 v[16:17], v[52:53], v[16:17], v[78:79] op_sel:[0,0,1] op_sel_hi:[1,0,0] neg_lo:[1,0,0] neg_hi:[1,0,0]
	v_mov_b32_e32 v81, v3
	v_mov_b32_e32 v51, v17
	v_pk_add_f32 v[2:3], v[12:13], v[80:81]
	v_pk_add_f32 v[16:17], v[80:81], v[50:51]
	v_pk_add_f32 v[52:53], v[80:81], v[50:51] neg_lo:[0,1] neg_hi:[0,1]
	s_waitcnt vmcnt(4)
	v_pk_mul_f32 v[66:67], v[28:29], v[54:55] op_sel:[1,0]
	v_pk_mul_f32 v[78:79], v[32:33], v[56:57] op_sel:[1,0]
	s_waitcnt vmcnt(3)
	v_pk_mul_f32 v[80:81], v[58:59], v[4:5] op_sel:[0,1]
	v_mov_b32_e32 v82, v61
	v_pk_add_f32 v[2:3], v[2:3], v[50:51]
	v_pk_fma_f32 v[12:13], v[16:17], 0.5, v[12:13] op_sel_hi:[1,0,1] neg_lo:[1,0,0] neg_hi:[1,0,0]
	v_pk_mul_f32 v[16:17], v[52:53], s[12:13] op_sel_hi:[1,0]
	v_pk_fma_f32 v[50:51], v[28:29], v[54:55], v[66:67] op_sel:[0,0,1] op_sel_hi:[1,1,0]
	v_pk_fma_f32 v[28:29], v[28:29], v[54:55], v[66:67] op_sel:[0,0,1] op_sel_hi:[0,1,0] neg_lo:[1,0,0] neg_hi:[1,0,0]
	v_pk_fma_f32 v[52:53], v[32:33], v[56:57], v[78:79] op_sel:[0,0,1] op_sel_hi:[1,1,0]
	v_pk_fma_f32 v[32:33], v[32:33], v[56:57], v[78:79] op_sel:[0,0,1] op_sel_hi:[0,1,0] neg_lo:[1,0,0] neg_hi:[1,0,0]
	v_pk_fma_f32 v[54:55], v[58:59], v[4:5], v[80:81] op_sel:[0,0,1] op_sel_hi:[1,1,0]
	v_pk_fma_f32 v[4:5], v[58:59], v[4:5], v[80:81] op_sel:[0,0,1] op_sel_hi:[1,0,0] neg_lo:[1,0,0] neg_hi:[1,0,0]
	v_pk_mul_f32 v[56:57], v[26:27], v[82:83] op_sel_hi:[1,0]
	v_mov_b32_e32 v51, v29
	v_mov_b32_e32 v53, v33
	v_pk_add_f32 v[58:59], v[12:13], v[16:17] op_sel:[0,1] op_sel_hi:[1,0] neg_lo:[0,1] neg_hi:[0,1]
	v_pk_add_f32 v[12:13], v[12:13], v[16:17] op_sel:[0,1] op_sel_hi:[1,0]
	v_mov_b32_e32 v55, v5
	v_pk_fma_f32 v[4:5], v[26:27], v[60:61], v[56:57] op_sel:[0,0,1] op_sel_hi:[1,1,0]
	v_pk_fma_f32 v[16:17], v[26:27], v[60:61], v[56:57] op_sel:[0,0,1] op_sel_hi:[1,0,0] neg_lo:[0,0,1] neg_hi:[0,0,1]
	v_pk_add_f32 v[26:27], v[30:31], v[50:51]
	v_pk_add_f32 v[32:33], v[50:51], v[52:53]
	v_pk_add_f32 v[50:51], v[50:51], v[52:53] neg_lo:[0,1] neg_hi:[0,1]
	v_pk_add_f32 v[28:29], v[26:27], v[52:53]
	v_pk_fma_f32 v[26:27], v[32:33], 0.5, v[30:31] op_sel_hi:[1,0,1] neg_lo:[1,0,0] neg_hi:[1,0,0]
	v_pk_mul_f32 v[32:33], v[50:51], s[12:13] op_sel_hi:[1,0]
	v_mov_b32_e32 v5, v17
	v_pk_add_f32 v[30:31], v[32:33], v[26:27] op_sel:[1,0] op_sel_hi:[0,1]
	v_pk_add_f32 v[32:33], v[26:27], v[32:33] op_sel:[0,1] op_sel_hi:[1,0] neg_lo:[0,1] neg_hi:[0,1]
	s_waitcnt vmcnt(2)
	v_pk_mul_f32 v[26:27], v[62:63], v[22:23] op_sel:[0,1]
	v_pk_add_f32 v[16:17], v[10:11], v[54:55]
	v_pk_fma_f32 v[50:51], v[62:63], v[22:23], v[26:27] op_sel:[0,0,1] op_sel_hi:[1,1,0]
	v_pk_fma_f32 v[22:23], v[62:63], v[22:23], v[26:27] op_sel:[0,0,1] op_sel_hi:[1,0,0] neg_lo:[1,0,0] neg_hi:[1,0,0]
	v_pk_add_f32 v[16:17], v[16:17], v[4:5]
	v_mov_b32_e32 v51, v23
	v_pk_mul_f32 v[22:23], v[64:65], v[24:25] op_sel:[0,1]
	s_nop 0
	v_pk_fma_f32 v[26:27], v[64:65], v[24:25], v[22:23] op_sel:[0,0,1] op_sel_hi:[1,1,0]
	v_pk_fma_f32 v[22:23], v[64:65], v[24:25], v[22:23] op_sel:[0,0,1] op_sel_hi:[1,0,0] neg_lo:[1,0,0] neg_hi:[1,0,0]
	s_waitcnt vmcnt(1)
	v_pk_mul_f32 v[24:25], v[70:71], v[20:21] op_sel:[0,1]
	v_mov_b32_e32 v27, v23
	v_pk_fma_f32 v[52:53], v[70:71], v[20:21], v[24:25] op_sel:[0,0,1] op_sel_hi:[1,1,0]
	v_pk_fma_f32 v[20:21], v[70:71], v[20:21], v[24:25] op_sel:[0,0,1] op_sel_hi:[1,0,0] neg_lo:[1,0,0] neg_hi:[1,0,0]
	v_pk_add_f32 v[22:23], v[8:9], v[50:51]
	v_mov_b32_e32 v53, v21
	v_pk_mul_f32 v[20:21], v[72:73], v[18:19] op_sel:[0,1]
	v_pk_add_f32 v[22:23], v[22:23], v[26:27]
	v_pk_fma_f32 v[24:25], v[72:73], v[18:19], v[20:21] op_sel:[0,0,1] op_sel_hi:[1,1,0]
	v_pk_fma_f32 v[18:19], v[72:73], v[18:19], v[20:21] op_sel:[0,0,1] op_sel_hi:[1,0,0] neg_lo:[1,0,0] neg_hi:[1,0,0]
	v_mov_b32_e32 v20, v58
	v_mov_b32_e32 v25, v19
	;; [unrolled: 1-line block ×4, first 2 shown]
	ds_write2_b64 v68, v[2:3], v[20:21] offset1:160
	ds_write_b64 v68, v[12:13] offset:2560
	v_pk_add_f32 v[2:3], v[52:53], v[24:25]
	v_pk_add_f32 v[12:13], v[52:53], v[24:25] neg_lo:[0,1] neg_hi:[0,1]
	v_pk_fma_f32 v[2:3], v[2:3], 0.5, v[14:15] op_sel_hi:[1,0,1] neg_lo:[1,0,0] neg_hi:[1,0,0]
	v_pk_mul_f32 v[12:13], v[12:13], s[12:13] op_sel_hi:[1,0]
	v_pk_add_f32 v[18:19], v[14:15], v[52:53]
	v_pk_add_f32 v[14:15], v[2:3], v[12:13] op_sel:[0,1] op_sel_hi:[1,0] neg_lo:[0,1] neg_hi:[0,1]
	v_pk_add_f32 v[2:3], v[2:3], v[12:13] op_sel:[0,1] op_sel_hi:[1,0]
	v_pk_add_f32 v[18:19], v[18:19], v[24:25]
	v_mov_b32_e32 v13, v3
	v_mov_b32_e32 v3, v15
	ds_write_b64 v39, v[2:3] offset:2560
	v_pk_add_f32 v[2:3], v[50:51], v[26:27]
	v_mov_b32_e32 v12, v14
	v_pk_fma_f32 v[2:3], v[2:3], 0.5, v[8:9] op_sel_hi:[1,0,1] neg_lo:[1,0,0] neg_hi:[1,0,0]
	v_pk_add_f32 v[8:9], v[50:51], v[26:27] neg_lo:[0,1] neg_hi:[0,1]
	ds_write2_b64 v39, v[18:19], v[12:13] offset1:160
	v_pk_mul_f32 v[8:9], v[8:9], s[12:13] op_sel_hi:[1,0]
	s_nop 0
	v_pk_add_f32 v[12:13], v[2:3], v[8:9] op_sel:[0,1] op_sel_hi:[1,0] neg_lo:[0,1] neg_hi:[0,1]
	v_pk_add_f32 v[2:3], v[2:3], v[8:9] op_sel:[0,1] op_sel_hi:[1,0]
	v_mov_b32_e32 v8, v12
	v_mov_b32_e32 v9, v3
	v_add_u32_e32 v3, 0xe00, v68
	ds_write2_b64 v3, v[22:23], v[8:9] offset0:52 offset1:212
	v_mov_b32_e32 v3, v13
	ds_write_b64 v68, v[2:3] offset:6560
	v_pk_add_f32 v[2:3], v[54:55], v[4:5]
	v_pk_add_f32 v[4:5], v[54:55], v[4:5] neg_lo:[0,1] neg_hi:[0,1]
	v_pk_fma_f32 v[2:3], v[2:3], 0.5, v[10:11] op_sel_hi:[1,0,1] neg_lo:[1,0,0] neg_hi:[1,0,0]
	v_pk_mul_f32 v[4:5], v[4:5], s[12:13] op_sel_hi:[1,0]
	v_lshl_add_u32 v10, v83, 3, 0
	v_pk_add_f32 v[8:9], v[2:3], v[4:5] op_sel:[0,1] op_sel_hi:[1,0] neg_lo:[0,1] neg_hi:[0,1]
	v_pk_add_f32 v[2:3], v[2:3], v[4:5] op_sel:[0,1] op_sel_hi:[1,0]
	v_mov_b32_e32 v4, v8
	v_mov_b32_e32 v5, v3
	;; [unrolled: 1-line block ×3, first 2 shown]
	ds_write_b64 v49, v[2:3] offset:2560
	s_waitcnt vmcnt(0)
	v_pk_mul_f32 v[2:3], v[6:7], v[74:75] op_sel:[0,1]
	ds_write2_b64 v49, v[16:17], v[4:5] offset1:160
	v_pk_fma_f32 v[4:5], v[6:7], v[74:75], v[2:3] op_sel:[0,0,1] op_sel_hi:[1,1,0]
	v_pk_fma_f32 v[2:3], v[6:7], v[74:75], v[2:3] op_sel:[0,0,1] op_sel_hi:[1,0,0] neg_lo:[0,0,1] neg_hi:[0,0,1]
	s_nop 0
	v_mov_b32_e32 v2, v77
	v_mov_b32_e32 v5, v3
	v_pk_mul_f32 v[2:3], v[36:37], v[2:3] op_sel_hi:[1,0]
	s_nop 0
	v_pk_fma_f32 v[6:7], v[36:37], v[76:77], v[2:3] op_sel:[0,0,1] op_sel_hi:[1,1,0]
	v_pk_fma_f32 v[2:3], v[36:37], v[76:77], v[2:3] op_sel:[0,0,1] op_sel_hi:[1,0,0] neg_lo:[0,0,1] neg_hi:[0,0,1]
	s_nop 0
	v_mov_b32_e32 v7, v3
	v_pk_add_f32 v[2:3], v[0:1], v[4:5]
	v_pk_add_f32 v[8:9], v[4:5], v[6:7]
	v_pk_add_f32 v[4:5], v[4:5], v[6:7] neg_lo:[0,1] neg_hi:[0,1]
	v_pk_fma_f32 v[0:1], v[8:9], 0.5, v[0:1] op_sel_hi:[1,0,1] neg_lo:[1,0,0] neg_hi:[1,0,0]
	v_pk_mul_f32 v[4:5], v[4:5], s[12:13] op_sel_hi:[1,0]
	v_pk_add_f32 v[2:3], v[2:3], v[6:7]
	v_pk_add_f32 v[6:7], v[0:1], v[4:5] op_sel:[0,1] op_sel_hi:[1,0] neg_lo:[0,1] neg_hi:[0,1]
	v_pk_add_f32 v[0:1], v[0:1], v[4:5] op_sel:[0,1] op_sel_hi:[1,0]
	v_mov_b32_e32 v4, v6
	v_mov_b32_e32 v5, v1
	v_add_u32_e32 v1, 0x1c00, v10
	ds_write2_b64 v1, v[2:3], v[4:5] offset0:64 offset1:224
	v_mov_b32_e32 v1, v7
	ds_write_b64 v10, v[0:1] offset:10240
	s_and_saveexec_b64 s[4:5], vcc
	s_cbranch_execz .LBB0_25
; %bb.24:
	v_lshl_add_u32 v2, v48, 3, 0
	v_mov_b32_e32 v0, v32
	v_mov_b32_e32 v1, v31
	v_add_u32_e32 v3, 0x1c00, v2
	ds_write2_b64 v3, v[28:29], v[0:1] offset0:64 offset1:224
	v_mov_b32_e32 v0, v30
	v_mov_b32_e32 v1, v33
	ds_write_b64 v2, v[0:1] offset:10240
.LBB0_25:
	s_or_b64 exec, exec, s[4:5]
	v_add_u32_e32 v4, 0x1c00, v68
	s_waitcnt lgkmcnt(0)
	s_barrier
	ds_read2_b64 v[24:27], v4 offset0:64 offset1:154
	v_add_u32_e32 v4, 0x1000, v68
	ds_read2_b64 v[20:23], v4 offset0:58 offset1:148
	v_add_u32_e32 v4, 0x400, v68
	;; [unrolled: 2-line block ×3, first 2 shown]
	v_add_u32_e32 v0, 0x800, v68
	ds_read2_b64 v[16:19], v4 offset0:116 offset1:206
	v_add_u32_e32 v4, 0x1400, v68
	ds_read2_b64 v[12:15], v68 offset1:90
	ds_read2_b64 v[0:3], v0 offset0:104 offset1:224
	ds_read2_b64 v[4:7], v4 offset0:110 offset1:200
	ds_read_b64 v[36:37], v68 offset:10560
	s_and_saveexec_b64 s[4:5], s[2:3]
	s_xor_b64 s[2:3], exec, s[4:5]
	s_andn2_saveexec_b64 s[2:3], s[2:3]
	s_cbranch_execz .LBB0_27
; %bb.26:
	ds_read_b64 v[48:49], v68 offset:11280
	ds_read_b64 v[32:33], v68 offset:7440
	ds_read_b64 v[28:29], v68 offset:3600
	s_waitcnt lgkmcnt(2)
	v_mov_b32_e32 v30, v48
	s_waitcnt lgkmcnt(1)
	v_mov_b32_e32 v31, v33
	v_mov_b32_e32 v33, v49
.LBB0_27:
	s_or_b64 exec, exec, s[2:3]
	global_load_dwordx4 v[48:51], v[34:35], off offset:3760
	v_lshlrev_b32_e32 v34, 1, v47
	v_mov_b32_e32 v35, 0
	v_lshl_add_u64 v[52:53], v[34:35], 3, s[8:9]
	v_mov_b32_e32 v34, 0x168
	v_lshl_add_u32 v34, v44, 1, v34
	global_load_dwordx4 v[52:55], v[52:53], off offset:3760
	v_lshl_add_u64 v[56:57], v[34:35], 3, s[8:9]
	v_lshlrev_b32_e32 v34, 1, v45
	v_lshl_add_u64 v[60:61], v[34:35], 3, s[8:9]
	global_load_dwordx4 v[56:59], v[56:57], off offset:3760
	v_lshlrev_b32_e32 v34, 1, v46
	global_load_dwordx4 v[60:63], v[60:61], off offset:3760
	v_lshl_add_u64 v[46:47], v[34:35], 3, s[8:9]
	global_load_dwordx4 v[64:67], v[46:47], off offset:3760
	s_mov_b32 s2, 0x3f5db3d7
	s_waitcnt lgkmcnt(0)
	s_barrier
	v_add_u32_e32 v39, 0x1c00, v68
	v_add_u32_e32 v45, 0x1000, v68
	s_waitcnt vmcnt(4)
	v_pk_mul_f32 v[46:47], v[48:49], v[2:3] op_sel:[0,1]
	v_pk_mul_f32 v[70:71], v[50:51], v[24:25] op_sel:[0,1]
	v_pk_fma_f32 v[72:73], v[48:49], v[2:3], v[46:47] op_sel:[0,0,1] op_sel_hi:[1,1,0]
	v_pk_fma_f32 v[2:3], v[48:49], v[2:3], v[46:47] op_sel:[0,0,1] op_sel_hi:[1,0,0] neg_lo:[1,0,0] neg_hi:[1,0,0]
	v_pk_fma_f32 v[46:47], v[50:51], v[24:25], v[70:71] op_sel:[0,0,1] op_sel_hi:[1,1,0]
	v_pk_fma_f32 v[24:25], v[50:51], v[24:25], v[70:71] op_sel:[0,0,1] op_sel_hi:[1,0,0] neg_lo:[1,0,0] neg_hi:[1,0,0]
	v_mov_b32_e32 v73, v3
	v_mov_b32_e32 v47, v25
	s_waitcnt vmcnt(3)
	v_pk_mul_f32 v[2:3], v[52:53], v[20:21] op_sel:[0,1]
	v_pk_mul_f32 v[24:25], v[54:55], v[26:27] op_sel:[0,1]
	v_pk_add_f32 v[48:49], v[12:13], v[72:73]
	v_pk_fma_f32 v[50:51], v[52:53], v[20:21], v[2:3] op_sel:[0,0,1] op_sel_hi:[1,1,0]
	v_pk_fma_f32 v[2:3], v[52:53], v[20:21], v[2:3] op_sel:[0,0,1] op_sel_hi:[1,0,0] neg_lo:[1,0,0] neg_hi:[1,0,0]
	v_pk_fma_f32 v[20:21], v[54:55], v[26:27], v[24:25] op_sel:[0,0,1] op_sel_hi:[1,1,0]
	v_pk_fma_f32 v[24:25], v[54:55], v[26:27], v[24:25] op_sel:[0,0,1] op_sel_hi:[1,0,0] neg_lo:[1,0,0] neg_hi:[1,0,0]
	v_pk_add_f32 v[26:27], v[72:73], v[46:47]
	v_pk_add_f32 v[52:53], v[72:73], v[46:47] neg_lo:[0,1] neg_hi:[0,1]
	v_pk_add_f32 v[46:47], v[48:49], v[46:47]
	v_mov_b32_e32 v51, v3
	v_mov_b32_e32 v21, v25
	s_waitcnt vmcnt(2)
	v_pk_mul_f32 v[2:3], v[56:57], v[22:23] op_sel:[0,1]
	v_pk_mul_f32 v[24:25], v[58:59], v[16:17] op_sel:[0,1]
	s_waitcnt vmcnt(1)
	v_pk_mul_f32 v[48:49], v[60:61], v[4:5] op_sel:[0,1]
	v_mov_b32_e32 v34, v63
	v_pk_fma_f32 v[12:13], v[26:27], 0.5, v[12:13] op_sel_hi:[1,0,1] neg_lo:[1,0,0] neg_hi:[1,0,0]
	v_pk_mul_f32 v[26:27], v[52:53], s[2:3] op_sel_hi:[1,0]
	v_pk_add_f32 v[52:53], v[14:15], v[50:51]
	v_pk_fma_f32 v[54:55], v[56:57], v[22:23], v[2:3] op_sel:[0,0,1] op_sel_hi:[1,1,0]
	v_pk_fma_f32 v[2:3], v[56:57], v[22:23], v[2:3] op_sel:[0,0,1] op_sel_hi:[1,0,0] neg_lo:[1,0,0] neg_hi:[1,0,0]
	v_pk_fma_f32 v[22:23], v[58:59], v[16:17], v[24:25] op_sel:[0,0,1] op_sel_hi:[1,1,0]
	v_pk_fma_f32 v[16:17], v[58:59], v[16:17], v[24:25] op_sel:[0,0,1] op_sel_hi:[1,0,0] neg_lo:[1,0,0] neg_hi:[1,0,0]
	;; [unrolled: 2-line block ×3, first 2 shown]
	v_pk_mul_f32 v[48:49], v[18:19], v[34:35] op_sel_hi:[1,0]
	v_pk_add_f32 v[56:57], v[12:13], v[26:27] op_sel:[0,1] op_sel_hi:[1,0] neg_lo:[0,1] neg_hi:[0,1]
	v_pk_add_f32 v[12:13], v[12:13], v[26:27] op_sel:[0,1] op_sel_hi:[1,0]
	v_pk_add_f32 v[26:27], v[50:51], v[20:21]
	v_pk_add_f32 v[50:51], v[50:51], v[20:21] neg_lo:[0,1] neg_hi:[0,1]
	v_pk_add_f32 v[20:21], v[52:53], v[20:21]
	v_mov_b32_e32 v55, v3
	v_mov_b32_e32 v23, v17
	;; [unrolled: 1-line block ×3, first 2 shown]
	v_pk_fma_f32 v[2:3], v[18:19], v[62:63], v[48:49] op_sel:[0,0,1] op_sel_hi:[1,1,0]
	v_pk_fma_f32 v[4:5], v[18:19], v[62:63], v[48:49] op_sel:[0,0,1] op_sel_hi:[1,0,0] neg_lo:[0,0,1] neg_hi:[0,0,1]
	v_pk_fma_f32 v[14:15], v[26:27], 0.5, v[14:15] op_sel_hi:[1,0,1] neg_lo:[1,0,0] neg_hi:[1,0,0]
	v_pk_mul_f32 v[18:19], v[50:51], s[2:3] op_sel_hi:[1,0]
	v_pk_add_f32 v[26:27], v[8:9], v[54:55]
	ds_write2_b64 v68, v[46:47], v[20:21] offset1:90
	v_pk_add_f32 v[20:21], v[14:15], v[18:19] op_sel:[0,1] op_sel_hi:[1,0] neg_lo:[0,1] neg_hi:[0,1]
	v_pk_add_f32 v[14:15], v[14:15], v[18:19] op_sel:[0,1] op_sel_hi:[1,0]
	v_pk_add_f32 v[18:19], v[54:55], v[22:23]
	v_pk_add_f32 v[46:47], v[54:55], v[22:23] neg_lo:[0,1] neg_hi:[0,1]
	v_mov_b32_e32 v17, v13
	v_mov_b32_e32 v13, v57
	v_pk_add_f32 v[22:23], v[26:27], v[22:23]
	v_mov_b32_e32 v27, v15
	v_mov_b32_e32 v15, v21
	v_pk_fma_f32 v[8:9], v[18:19], 0.5, v[8:9] op_sel_hi:[1,0,1] neg_lo:[1,0,0] neg_hi:[1,0,0]
	v_pk_mul_f32 v[18:19], v[46:47], s[2:3] op_sel_hi:[1,0]
	v_mov_b32_e32 v3, v5
	v_pk_add_f32 v[4:5], v[10:11], v[24:25]
	ds_write2_b64 v39, v[12:13], v[14:15] offset0:64 offset1:154
	v_pk_add_f32 v[12:13], v[8:9], v[18:19] op_sel:[0,1] op_sel_hi:[1,0] neg_lo:[0,1] neg_hi:[0,1]
	v_pk_add_f32 v[4:5], v[4:5], v[2:3]
	v_mov_b32_e32 v14, v12
	v_add_u32_e32 v12, 0x400, v68
	ds_write2_b64 v12, v[22:23], v[4:5] offset0:52 offset1:142
	v_pk_add_f32 v[4:5], v[24:25], v[2:3]
	v_pk_add_f32 v[2:3], v[24:25], v[2:3] neg_lo:[0,1] neg_hi:[0,1]
	v_pk_fma_f32 v[4:5], v[4:5], 0.5, v[10:11] op_sel_hi:[1,0,1] neg_lo:[1,0,0] neg_hi:[1,0,0]
	v_pk_mul_f32 v[2:3], v[2:3], s[2:3] op_sel_hi:[1,0]
	v_pk_add_f32 v[8:9], v[8:9], v[18:19] op_sel:[0,1] op_sel_hi:[1,0]
	v_pk_add_f32 v[10:11], v[4:5], v[2:3] op_sel:[0,1] op_sel_hi:[1,0] neg_lo:[0,1] neg_hi:[0,1]
	v_pk_add_f32 v[2:3], v[4:5], v[2:3] op_sel:[0,1] op_sel_hi:[1,0]
	v_mov_b32_e32 v15, v9
	v_mov_b32_e32 v9, v13
	;; [unrolled: 1-line block ×5, first 2 shown]
	v_add_u32_e32 v10, 0x2000, v68
	ds_write2_b64 v10, v[8:9], v[2:3] offset0:116 offset1:206
	s_waitcnt vmcnt(0)
	v_pk_mul_f32 v[2:3], v[6:7], v[64:65] op_sel:[0,1]
	v_mov_b32_e32 v16, v56
	v_pk_fma_f32 v[8:9], v[6:7], v[64:65], v[2:3] op_sel:[0,0,1] op_sel_hi:[1,1,0]
	v_pk_fma_f32 v[2:3], v[6:7], v[64:65], v[2:3] op_sel:[0,0,1] op_sel_hi:[1,0,0] neg_lo:[0,0,1] neg_hi:[0,0,1]
	v_add_u32_e32 v10, 0x800, v68
	v_mov_b32_e32 v2, v67
	v_mov_b32_e32 v9, v3
	v_pk_mul_f32 v[2:3], v[36:37], v[2:3] op_sel_hi:[1,0]
	v_mov_b32_e32 v26, v20
	v_pk_fma_f32 v[6:7], v[36:37], v[66:67], v[2:3] op_sel:[0,0,1] op_sel_hi:[1,1,0]
	v_pk_fma_f32 v[2:3], v[36:37], v[66:67], v[2:3] op_sel:[0,0,1] op_sel_hi:[1,0,0] neg_lo:[0,0,1] neg_hi:[0,0,1]
	ds_write2_b64 v45, v[26:27], v[14:15] offset0:58 offset1:148
	v_mov_b32_e32 v7, v3
	v_pk_add_f32 v[2:3], v[0:1], v[8:9]
	s_nop 0
	v_pk_add_f32 v[2:3], v[2:3], v[6:7]
	ds_write2_b64 v10, v[2:3], v[16:17] offset0:104 offset1:224
	v_pk_add_f32 v[2:3], v[8:9], v[6:7]
	s_nop 0
	v_pk_fma_f32 v[0:1], v[2:3], 0.5, v[0:1] op_sel_hi:[1,0,1] neg_lo:[1,0,0] neg_hi:[1,0,0]
	v_pk_add_f32 v[2:3], v[8:9], v[6:7] neg_lo:[0,1] neg_hi:[0,1]
	s_nop 0
	v_pk_mul_f32 v[2:3], v[2:3], s[2:3] op_sel_hi:[1,0]
	s_nop 0
	v_pk_add_f32 v[6:7], v[0:1], v[2:3] op_sel:[0,1] op_sel_hi:[1,0] neg_lo:[0,1] neg_hi:[0,1]
	v_pk_add_f32 v[0:1], v[0:1], v[2:3] op_sel:[0,1] op_sel_hi:[1,0]
	v_mov_b32_e32 v2, v6
	v_mov_b32_e32 v3, v1
	v_add_u32_e32 v1, 0x1400, v68
	ds_write2_b64 v1, v[4:5], v[2:3] offset0:110 offset1:200
	v_mov_b32_e32 v1, v7
	ds_write_b64 v68, v[0:1] offset:10560
	s_and_saveexec_b64 s[4:5], vcc
	s_cbranch_execz .LBB0_29
; %bb.28:
	v_subrev_u32_e32 v0, 30, v44
	v_cndmask_b32_e32 v0, v0, v38, vcc
	v_lshlrev_b32_e32 v34, 1, v0
	v_lshl_add_u64 v[0:1], v[34:35], 3, s[8:9]
	global_load_dwordx4 v[0:3], v[0:1], off offset:3760
	s_waitcnt vmcnt(0)
	v_pk_mul_f32 v[4:5], v[30:31], v[0:1] op_sel:[1,0]
	v_pk_mul_f32 v[6:7], v[32:33], v[2:3] op_sel:[1,0]
	v_pk_fma_f32 v[8:9], v[32:33], v[0:1], v[4:5] op_sel:[0,0,1] op_sel_hi:[1,1,0]
	v_pk_fma_f32 v[0:1], v[32:33], v[0:1], v[4:5] op_sel:[0,0,1] op_sel_hi:[0,1,0] neg_lo:[1,0,0] neg_hi:[1,0,0]
	v_pk_fma_f32 v[4:5], v[30:31], v[2:3], v[6:7] op_sel:[0,0,1] op_sel_hi:[1,1,0]
	v_pk_fma_f32 v[2:3], v[30:31], v[2:3], v[6:7] op_sel:[0,0,1] op_sel_hi:[0,1,0] neg_lo:[1,0,0] neg_hi:[1,0,0]
	v_mov_b32_e32 v9, v1
	v_mov_b32_e32 v5, v3
	v_pk_add_f32 v[0:1], v[28:29], v[8:9]
	v_pk_add_f32 v[2:3], v[8:9], v[4:5]
	v_pk_add_f32 v[6:7], v[8:9], v[4:5] neg_lo:[0,1] neg_hi:[0,1]
	v_pk_add_f32 v[0:1], v[0:1], v[4:5]
	v_pk_fma_f32 v[2:3], -0.5, v[2:3], v[28:29] op_sel_hi:[0,1,1]
	v_pk_mul_f32 v[4:5], v[6:7], s[2:3] op_sel_hi:[1,0]
	ds_write_b64 v68, v[0:1] offset:3600
	v_pk_add_f32 v[0:1], v[2:3], v[4:5] op_sel:[0,1] op_sel_hi:[1,0] neg_lo:[0,1] neg_hi:[0,1]
	v_pk_add_f32 v[2:3], v[2:3], v[4:5] op_sel:[0,1] op_sel_hi:[1,0]
	v_mov_b32_e32 v4, v0
	v_mov_b32_e32 v5, v3
	;; [unrolled: 1-line block ×3, first 2 shown]
	ds_write_b64 v68, v[4:5] offset:7440
	ds_write_b64 v68, v[2:3] offset:11280
.LBB0_29:
	s_or_b64 exec, exec, s[4:5]
	s_waitcnt lgkmcnt(0)
	s_barrier
	s_and_saveexec_b64 s[2:3], s[0:1]
	s_cbranch_execz .LBB0_31
; %bb.30:
	v_mul_lo_u32 v0, s11, v42
	v_mul_lo_u32 v1, s10, v43
	v_mad_u64_u32 v[4:5], s[0:1], s10, v42, 0
	v_lshl_add_u32 v10, v44, 3, 0
	v_add3_u32 v5, v5, v1, v0
	ds_read2_b64 v[0:3], v10 offset1:90
	v_lshl_add_u64 v[4:5], v[4:5], 3, s[6:7]
	v_mov_b32_e32 v45, 0
	v_lshl_add_u64 v[8:9], v[40:41], 3, v[4:5]
	v_lshl_add_u64 v[4:5], v[44:45], 3, v[8:9]
	s_waitcnt lgkmcnt(0)
	global_store_dwordx2 v[4:5], v[0:1], off
	v_add_u32_e32 v4, 0x400, v10
	ds_read2_b64 v[4:7], v4 offset0:52 offset1:142
	v_add_u32_e32 v0, 0x5a, v44
	v_mov_b32_e32 v1, v45
	v_lshl_add_u64 v[0:1], v[0:1], 3, v[8:9]
	global_store_dwordx2 v[0:1], v[2:3], off
	v_add_u32_e32 v0, 0xb4, v44
	v_mov_b32_e32 v1, v45
	v_lshl_add_u64 v[0:1], v[0:1], 3, v[8:9]
	s_waitcnt lgkmcnt(0)
	global_store_dwordx2 v[0:1], v[4:5], off
	v_add_u32_e32 v0, 0x10e, v44
	v_mov_b32_e32 v1, v45
	v_lshl_add_u64 v[4:5], v[0:1], 3, v[8:9]
	v_add_u32_e32 v0, 0x800, v10
	ds_read2_b64 v[0:3], v0 offset0:104 offset1:194
	global_store_dwordx2 v[4:5], v[6:7], off
	v_add_u32_e32 v4, 0x168, v44
	v_mov_b32_e32 v5, v45
	v_lshl_add_u64 v[4:5], v[4:5], 3, v[8:9]
	s_waitcnt lgkmcnt(0)
	global_store_dwordx2 v[4:5], v[0:1], off
	v_add_u32_e32 v4, 0x1000, v10
	ds_read2_b64 v[4:7], v4 offset0:28 offset1:118
	v_add_u32_e32 v0, 0x1c2, v44
	v_mov_b32_e32 v1, v45
	v_lshl_add_u64 v[0:1], v[0:1], 3, v[8:9]
	global_store_dwordx2 v[0:1], v[2:3], off
	v_add_u32_e32 v0, 0x21c, v44
	v_mov_b32_e32 v1, v45
	v_lshl_add_u64 v[0:1], v[0:1], 3, v[8:9]
	s_waitcnt lgkmcnt(0)
	global_store_dwordx2 v[0:1], v[4:5], off
	v_add_u32_e32 v0, 0x276, v44
	v_mov_b32_e32 v1, v45
	v_lshl_add_u64 v[4:5], v[0:1], 3, v[8:9]
	v_add_u32_e32 v0, 0x1400, v10
	ds_read2_b64 v[0:3], v0 offset0:80 offset1:170
	global_store_dwordx2 v[4:5], v[6:7], off
	v_add_u32_e32 v4, 0x2d0, v44
	v_mov_b32_e32 v5, v45
	;; [unrolled: 22-line block ×3, first 2 shown]
	v_lshl_add_u64 v[4:5], v[4:5], 3, v[8:9]
	s_waitcnt lgkmcnt(0)
	global_store_dwordx2 v[4:5], v[0:1], off
	v_add_u32_e32 v4, 0x2400, v10
	ds_read2_b64 v[4:7], v4 offset0:108 offset1:198
	v_add_u32_e32 v0, 0x492, v44
	v_mov_b32_e32 v1, v45
	v_lshl_add_u64 v[0:1], v[0:1], 3, v[8:9]
	global_store_dwordx2 v[0:1], v[2:3], off
	v_add_u32_e32 v0, 0x4ec, v44
	v_mov_b32_e32 v1, v45
	v_lshl_add_u64 v[0:1], v[0:1], 3, v[8:9]
	v_add_u32_e32 v44, 0x546, v44
	s_waitcnt lgkmcnt(0)
	global_store_dwordx2 v[0:1], v[4:5], off
	v_lshl_add_u64 v[0:1], v[44:45], 3, v[8:9]
	global_store_dwordx2 v[0:1], v[6:7], off
.LBB0_31:
	s_endpgm
	.section	.rodata,"a",@progbits
	.p2align	6, 0x0
	.amdhsa_kernel fft_rtc_back_len1440_factors_10_16_3_3_wgs_90_tpt_90_halfLds_sp_op_CI_CI_unitstride_sbrr_C2R_dirReg
		.amdhsa_group_segment_fixed_size 0
		.amdhsa_private_segment_fixed_size 0
		.amdhsa_kernarg_size 104
		.amdhsa_user_sgpr_count 2
		.amdhsa_user_sgpr_dispatch_ptr 0
		.amdhsa_user_sgpr_queue_ptr 0
		.amdhsa_user_sgpr_kernarg_segment_ptr 1
		.amdhsa_user_sgpr_dispatch_id 0
		.amdhsa_user_sgpr_kernarg_preload_length 0
		.amdhsa_user_sgpr_kernarg_preload_offset 0
		.amdhsa_user_sgpr_private_segment_size 0
		.amdhsa_uses_dynamic_stack 0
		.amdhsa_enable_private_segment 0
		.amdhsa_system_sgpr_workgroup_id_x 1
		.amdhsa_system_sgpr_workgroup_id_y 0
		.amdhsa_system_sgpr_workgroup_id_z 0
		.amdhsa_system_sgpr_workgroup_info 0
		.amdhsa_system_vgpr_workitem_id 0
		.amdhsa_next_free_vgpr 96
		.amdhsa_next_free_sgpr 28
		.amdhsa_accum_offset 96
		.amdhsa_reserve_vcc 1
		.amdhsa_float_round_mode_32 0
		.amdhsa_float_round_mode_16_64 0
		.amdhsa_float_denorm_mode_32 3
		.amdhsa_float_denorm_mode_16_64 3
		.amdhsa_dx10_clamp 1
		.amdhsa_ieee_mode 1
		.amdhsa_fp16_overflow 0
		.amdhsa_tg_split 0
		.amdhsa_exception_fp_ieee_invalid_op 0
		.amdhsa_exception_fp_denorm_src 0
		.amdhsa_exception_fp_ieee_div_zero 0
		.amdhsa_exception_fp_ieee_overflow 0
		.amdhsa_exception_fp_ieee_underflow 0
		.amdhsa_exception_fp_ieee_inexact 0
		.amdhsa_exception_int_div_zero 0
	.end_amdhsa_kernel
	.text
.Lfunc_end0:
	.size	fft_rtc_back_len1440_factors_10_16_3_3_wgs_90_tpt_90_halfLds_sp_op_CI_CI_unitstride_sbrr_C2R_dirReg, .Lfunc_end0-fft_rtc_back_len1440_factors_10_16_3_3_wgs_90_tpt_90_halfLds_sp_op_CI_CI_unitstride_sbrr_C2R_dirReg
                                        ; -- End function
	.section	.AMDGPU.csdata,"",@progbits
; Kernel info:
; codeLenInByte = 10312
; NumSgprs: 34
; NumVgprs: 96
; NumAgprs: 0
; TotalNumVgprs: 96
; ScratchSize: 0
; MemoryBound: 0
; FloatMode: 240
; IeeeMode: 1
; LDSByteSize: 0 bytes/workgroup (compile time only)
; SGPRBlocks: 4
; VGPRBlocks: 11
; NumSGPRsForWavesPerEU: 34
; NumVGPRsForWavesPerEU: 96
; AccumOffset: 96
; Occupancy: 5
; WaveLimiterHint : 1
; COMPUTE_PGM_RSRC2:SCRATCH_EN: 0
; COMPUTE_PGM_RSRC2:USER_SGPR: 2
; COMPUTE_PGM_RSRC2:TRAP_HANDLER: 0
; COMPUTE_PGM_RSRC2:TGID_X_EN: 1
; COMPUTE_PGM_RSRC2:TGID_Y_EN: 0
; COMPUTE_PGM_RSRC2:TGID_Z_EN: 0
; COMPUTE_PGM_RSRC2:TIDIG_COMP_CNT: 0
; COMPUTE_PGM_RSRC3_GFX90A:ACCUM_OFFSET: 23
; COMPUTE_PGM_RSRC3_GFX90A:TG_SPLIT: 0
	.text
	.p2alignl 6, 3212836864
	.fill 256, 4, 3212836864
	.type	__hip_cuid_c8d4fc7bcebc6d9,@object ; @__hip_cuid_c8d4fc7bcebc6d9
	.section	.bss,"aw",@nobits
	.globl	__hip_cuid_c8d4fc7bcebc6d9
__hip_cuid_c8d4fc7bcebc6d9:
	.byte	0                               ; 0x0
	.size	__hip_cuid_c8d4fc7bcebc6d9, 1

	.ident	"AMD clang version 19.0.0git (https://github.com/RadeonOpenCompute/llvm-project roc-6.4.0 25133 c7fe45cf4b819c5991fe208aaa96edf142730f1d)"
	.section	".note.GNU-stack","",@progbits
	.addrsig
	.addrsig_sym __hip_cuid_c8d4fc7bcebc6d9
	.amdgpu_metadata
---
amdhsa.kernels:
  - .agpr_count:     0
    .args:
      - .actual_access:  read_only
        .address_space:  global
        .offset:         0
        .size:           8
        .value_kind:     global_buffer
      - .offset:         8
        .size:           8
        .value_kind:     by_value
      - .actual_access:  read_only
        .address_space:  global
        .offset:         16
        .size:           8
        .value_kind:     global_buffer
      - .actual_access:  read_only
        .address_space:  global
        .offset:         24
        .size:           8
        .value_kind:     global_buffer
      - .actual_access:  read_only
        .address_space:  global
        .offset:         32
        .size:           8
        .value_kind:     global_buffer
      - .offset:         40
        .size:           8
        .value_kind:     by_value
      - .actual_access:  read_only
        .address_space:  global
        .offset:         48
        .size:           8
        .value_kind:     global_buffer
      - .actual_access:  read_only
        .address_space:  global
        .offset:         56
        .size:           8
        .value_kind:     global_buffer
      - .offset:         64
        .size:           4
        .value_kind:     by_value
      - .actual_access:  read_only
        .address_space:  global
        .offset:         72
        .size:           8
        .value_kind:     global_buffer
      - .actual_access:  read_only
        .address_space:  global
        .offset:         80
        .size:           8
        .value_kind:     global_buffer
      - .actual_access:  read_only
        .address_space:  global
        .offset:         88
        .size:           8
        .value_kind:     global_buffer
      - .actual_access:  write_only
        .address_space:  global
        .offset:         96
        .size:           8
        .value_kind:     global_buffer
    .group_segment_fixed_size: 0
    .kernarg_segment_align: 8
    .kernarg_segment_size: 104
    .language:       OpenCL C
    .language_version:
      - 2
      - 0
    .max_flat_workgroup_size: 90
    .name:           fft_rtc_back_len1440_factors_10_16_3_3_wgs_90_tpt_90_halfLds_sp_op_CI_CI_unitstride_sbrr_C2R_dirReg
    .private_segment_fixed_size: 0
    .sgpr_count:     34
    .sgpr_spill_count: 0
    .symbol:         fft_rtc_back_len1440_factors_10_16_3_3_wgs_90_tpt_90_halfLds_sp_op_CI_CI_unitstride_sbrr_C2R_dirReg.kd
    .uniform_work_group_size: 1
    .uses_dynamic_stack: false
    .vgpr_count:     96
    .vgpr_spill_count: 0
    .wavefront_size: 64
amdhsa.target:   amdgcn-amd-amdhsa--gfx950
amdhsa.version:
  - 1
  - 2
...

	.end_amdgpu_metadata
